;; amdgpu-corpus repo=ROCm/rocFFT kind=compiled arch=gfx906 opt=O3
	.text
	.amdgcn_target "amdgcn-amd-amdhsa--gfx906"
	.amdhsa_code_object_version 6
	.protected	bluestein_single_back_len882_dim1_sp_op_CI_CI ; -- Begin function bluestein_single_back_len882_dim1_sp_op_CI_CI
	.globl	bluestein_single_back_len882_dim1_sp_op_CI_CI
	.p2align	8
	.type	bluestein_single_back_len882_dim1_sp_op_CI_CI,@function
bluestein_single_back_len882_dim1_sp_op_CI_CI: ; @bluestein_single_back_len882_dim1_sp_op_CI_CI
; %bb.0:
	s_load_dwordx4 s[8:11], s[4:5], 0x28
	v_mul_u32_u24_e32 v1, 0x411, v0
	v_add_u32_sdwa v80, s6, v1 dst_sel:DWORD dst_unused:UNUSED_PAD src0_sel:DWORD src1_sel:WORD_1
	v_mov_b32_e32 v81, 0
	s_waitcnt lgkmcnt(0)
	v_cmp_gt_u64_e32 vcc, s[8:9], v[80:81]
	s_and_saveexec_b64 s[0:1], vcc
	s_cbranch_execz .LBB0_15
; %bb.1:
	s_load_dwordx4 s[0:3], s[4:5], 0x18
	v_mov_b32_e32 v2, 63
	v_mul_lo_u16_sdwa v1, v1, v2 dst_sel:DWORD dst_unused:UNUSED_PAD src0_sel:WORD_1 src1_sel:DWORD
	v_sub_u16_e32 v108, v0, v1
	v_lshlrev_b32_e32 v107, 3, v108
	s_waitcnt lgkmcnt(0)
	s_load_dwordx4 s[12:15], s[0:1], 0x0
	s_waitcnt lgkmcnt(0)
	v_mad_u64_u32 v[0:1], s[0:1], s14, v80, 0
	v_mad_u64_u32 v[2:3], s[0:1], s12, v108, 0
	s_mul_i32 s6, s13, 0x62
	s_mul_hi_u32 s7, s12, 0x62
	v_mad_u64_u32 v[4:5], s[0:1], s15, v80, v[1:2]
	s_load_dwordx2 s[14:15], s[4:5], 0x0
	s_add_i32 s7, s7, s6
	v_mad_u64_u32 v[5:6], s[0:1], s13, v108, v[3:4]
	v_mov_b32_e32 v1, v4
	v_lshlrev_b64 v[0:1], 3, v[0:1]
	v_mov_b32_e32 v6, s11
	v_mov_b32_e32 v3, v5
	v_add_co_u32_e32 v4, vcc, s10, v0
	v_addc_co_u32_e32 v5, vcc, v6, v1, vcc
	v_lshlrev_b64 v[0:1], 3, v[2:3]
	s_waitcnt lgkmcnt(0)
	v_mov_b32_e32 v2, s15
	v_add_co_u32_e32 v0, vcc, v4, v0
	v_add_co_u32_e64 v68, s[0:1], s14, v107
	s_mul_i32 s6, s12, 0x62
	v_addc_co_u32_e32 v1, vcc, v5, v1, vcc
	v_addc_co_u32_e64 v69, vcc, 0, v2, s[0:1]
	s_lshl_b64 s[16:17], s[6:7], 3
	v_mov_b32_e32 v22, s17
	v_add_co_u32_e32 v2, vcc, s16, v0
	v_addc_co_u32_e32 v3, vcc, v1, v22, vcc
	v_add_co_u32_e32 v4, vcc, s16, v2
	v_addc_co_u32_e32 v5, vcc, v3, v22, vcc
	;; [unrolled: 2-line block ×3, first 2 shown]
	global_load_dwordx2 v[85:86], v107, s[14:15]
	global_load_dwordx2 v[8:9], v[0:1], off
	global_load_dwordx2 v[10:11], v[2:3], off
	;; [unrolled: 1-line block ×4, first 2 shown]
	global_load_dwordx2 v[87:88], v107, s[14:15] offset:784
	global_load_dwordx2 v[83:84], v107, s[14:15] offset:1568
	;; [unrolled: 1-line block ×3, first 2 shown]
	v_add_co_u32_e32 v0, vcc, s16, v6
	v_addc_co_u32_e32 v1, vcc, v7, v22, vcc
	global_load_dwordx2 v[5:6], v[0:1], off
	v_add_co_u32_e32 v0, vcc, s16, v0
	v_addc_co_u32_e32 v1, vcc, v1, v22, vcc
	v_add_co_u32_e32 v2, vcc, s16, v0
	v_addc_co_u32_e32 v3, vcc, v1, v22, vcc
	s_movk_i32 s6, 0x1000
	global_load_dwordx2 v[16:17], v[0:1], off
	global_load_dwordx2 v[81:82], v107, s[14:15] offset:3136
	global_load_dwordx2 v[76:77], v107, s[14:15] offset:3920
	v_add_co_u32_e32 v0, vcc, s6, v68
	v_addc_co_u32_e32 v1, vcc, 0, v69, vcc
	global_load_dwordx2 v[18:19], v[2:3], off
	v_add_co_u32_e32 v2, vcc, s16, v2
	global_load_dwordx2 v[74:75], v[0:1], off offset:608
	v_addc_co_u32_e32 v3, vcc, v3, v22, vcc
	global_load_dwordx2 v[20:21], v[2:3], off
	global_load_dwordx2 v[72:73], v[0:1], off offset:1392
	v_add_co_u32_e32 v2, vcc, s16, v2
	v_addc_co_u32_e32 v3, vcc, v3, v22, vcc
	global_load_dwordx2 v[70:71], v[0:1], off offset:2176
	global_load_dwordx2 v[22:23], v[2:3], off
	s_load_dwordx2 s[6:7], s[4:5], 0x38
	s_load_dwordx4 s[8:11], s[2:3], 0x0
	v_cmp_gt_u16_e32 vcc, 35, v108
	s_waitcnt vmcnt(16)
	v_mul_f32_e32 v7, v9, v86
	v_mul_f32_e32 v4, v8, v86
	v_fmac_f32_e32 v7, v8, v85
	v_fma_f32 v8, v9, v85, -v4
	s_waitcnt vmcnt(12)
	v_mul_f32_e32 v9, v11, v88
	v_mul_f32_e32 v4, v10, v88
	v_fmac_f32_e32 v9, v10, v87
	v_fma_f32 v10, v11, v87, -v4
	s_waitcnt vmcnt(11)
	v_mul_f32_e32 v11, v13, v84
	v_mul_f32_e32 v4, v12, v84
	ds_write2_b64 v107, v[7:8], v[9:10] offset1:98
	v_fmac_f32_e32 v11, v12, v83
	v_fma_f32 v12, v13, v83, -v4
	s_waitcnt vmcnt(10)
	v_mul_f32_e32 v7, v15, v79
	v_mul_f32_e32 v4, v14, v79
	v_fmac_f32_e32 v7, v14, v78
	v_fma_f32 v8, v15, v78, -v4
	v_add_u32_e32 v4, 0x400, v107
	ds_write2_b64 v4, v[11:12], v[7:8] offset0:68 offset1:166
	s_waitcnt vmcnt(7)
	v_mul_f32_e32 v7, v6, v82
	v_fmac_f32_e32 v7, v5, v81
	v_mul_f32_e32 v5, v5, v82
	v_fma_f32 v8, v6, v81, -v5
	s_waitcnt vmcnt(6)
	v_mul_f32_e32 v9, v17, v77
	v_mul_f32_e32 v5, v16, v77
	v_fmac_f32_e32 v9, v16, v76
	v_fma_f32 v10, v17, v76, -v5
	v_add_u32_e32 v5, 0x800, v107
	s_waitcnt vmcnt(4)
	v_mul_f32_e32 v6, v18, v75
	ds_write2_b64 v5, v[7:8], v[9:10] offset0:136 offset1:234
	v_mul_f32_e32 v7, v19, v75
	v_fma_f32 v8, v19, v74, -v6
	s_waitcnt vmcnt(2)
	v_mul_f32_e32 v9, v21, v73
	v_mul_f32_e32 v6, v20, v73
	v_fmac_f32_e32 v7, v18, v74
	v_fmac_f32_e32 v9, v20, v72
	v_fma_f32 v10, v21, v72, -v6
	v_add_u32_e32 v6, 0x1000, v107
	ds_write2_b64 v6, v[7:8], v[9:10] offset0:76 offset1:174
	s_waitcnt vmcnt(0)
	v_mul_f32_e32 v7, v23, v71
	v_mul_f32_e32 v8, v22, v71
	v_fmac_f32_e32 v7, v22, v70
	v_fma_f32 v8, v23, v70, -v8
	ds_write_b64 v107, v[7:8] offset:6272
	s_and_saveexec_b64 s[18:19], vcc
	s_cbranch_execz .LBB0_3
; %bb.2:
	v_mov_b32_e32 v7, 0xffffe978
	v_mad_u64_u32 v[2:3], s[2:3], s12, v7, v[2:3]
	s_mul_i32 s2, s13, 0xffffe978
	s_sub_i32 s2, s2, s12
	v_add_u32_e32 v3, s2, v3
	global_load_dwordx2 v[7:8], v[2:3], off
	global_load_dwordx2 v[9:10], v[68:69], off offset:504
	v_mov_b32_e32 v39, s17
	v_add_co_u32_e64 v2, s[2:3], s16, v2
	v_addc_co_u32_e64 v3, s[2:3], v3, v39, s[2:3]
	global_load_dwordx2 v[11:12], v[2:3], off
	v_add_co_u32_e64 v2, s[2:3], s16, v2
	v_addc_co_u32_e64 v3, s[2:3], v3, v39, s[2:3]
	global_load_dwordx2 v[13:14], v[2:3], off
	;; [unrolled: 3-line block ×3, first 2 shown]
	global_load_dwordx2 v[17:18], v[68:69], off offset:1288
	global_load_dwordx2 v[19:20], v[68:69], off offset:2072
	;; [unrolled: 1-line block ×3, first 2 shown]
	v_add_co_u32_e64 v2, s[2:3], s16, v2
	v_addc_co_u32_e64 v3, s[2:3], v3, v39, s[2:3]
	global_load_dwordx2 v[23:24], v[2:3], off
	global_load_dwordx2 v[25:26], v[68:69], off offset:3640
	v_add_co_u32_e64 v2, s[2:3], s16, v2
	v_addc_co_u32_e64 v3, s[2:3], v3, v39, s[2:3]
	global_load_dwordx2 v[27:28], v[2:3], off
	v_add_co_u32_e64 v2, s[2:3], s16, v2
	v_addc_co_u32_e64 v3, s[2:3], v3, v39, s[2:3]
	global_load_dwordx2 v[29:30], v[2:3], off
	global_load_dwordx2 v[31:32], v[0:1], off offset:328
	global_load_dwordx2 v[33:34], v[0:1], off offset:1112
	v_add_co_u32_e64 v2, s[2:3], s16, v2
	v_addc_co_u32_e64 v3, s[2:3], v3, v39, s[2:3]
	global_load_dwordx2 v[35:36], v[2:3], off
	global_load_dwordx2 v[37:38], v[0:1], off offset:1896
	v_add_co_u32_e64 v2, s[2:3], s16, v2
	v_addc_co_u32_e64 v3, s[2:3], v3, v39, s[2:3]
	global_load_dwordx2 v[39:40], v[0:1], off offset:2680
	global_load_dwordx2 v[41:42], v[2:3], off
	v_add_u32_e32 v43, 0xc00, v107
	s_waitcnt vmcnt(16)
	v_mul_f32_e32 v0, v8, v10
	v_mul_f32_e32 v1, v7, v10
	v_fmac_f32_e32 v0, v7, v9
	v_fma_f32 v1, v8, v9, -v1
	s_waitcnt vmcnt(12)
	v_mul_f32_e32 v2, v12, v18
	v_mul_f32_e32 v3, v11, v18
	v_fmac_f32_e32 v2, v11, v17
	v_fma_f32 v3, v12, v17, -v3
	s_waitcnt vmcnt(11)
	v_mul_f32_e32 v7, v14, v20
	v_mul_f32_e32 v8, v13, v20
	ds_write2_b64 v107, v[0:1], v[2:3] offset0:63 offset1:161
	s_waitcnt vmcnt(10)
	v_mul_f32_e32 v0, v16, v22
	v_mul_f32_e32 v1, v15, v22
	v_fmac_f32_e32 v7, v13, v19
	v_fma_f32 v8, v14, v19, -v8
	v_fmac_f32_e32 v0, v15, v21
	v_fma_f32 v1, v16, v21, -v1
	s_waitcnt vmcnt(8)
	v_mul_f32_e32 v2, v24, v26
	v_mul_f32_e32 v3, v23, v26
	ds_write2_b64 v5, v[7:8], v[0:1] offset0:3 offset1:101
	s_waitcnt vmcnt(5)
	v_mul_f32_e32 v0, v28, v32
	v_mul_f32_e32 v1, v27, v32
	v_fmac_f32_e32 v2, v23, v25
	v_fma_f32 v3, v24, v25, -v3
	;; [unrolled: 11-line block ×3, first 2 shown]
	v_fmac_f32_e32 v0, v35, v37
	v_fma_f32 v1, v36, v37, -v1
	s_waitcnt vmcnt(0)
	v_mul_f32_e32 v2, v42, v40
	ds_write2_b64 v6, v[7:8], v[0:1] offset0:139 offset1:237
	v_mul_f32_e32 v0, v41, v40
	v_fmac_f32_e32 v2, v41, v39
	v_fma_f32 v3, v42, v39, -v0
	ds_write_b64 v107, v[2:3] offset:6776
.LBB0_3:
	s_or_b64 exec, exec, s[18:19]
	s_waitcnt lgkmcnt(0)
	; wave barrier
	s_waitcnt lgkmcnt(0)
	ds_read2_b64 v[8:11], v107 offset1:98
	ds_read2_b64 v[24:27], v4 offset0:68 offset1:166
	ds_read2_b64 v[20:23], v5 offset0:136 offset1:234
	;; [unrolled: 1-line block ×3, first 2 shown]
	ds_read_b64 v[34:35], v107 offset:6272
	s_load_dwordx2 s[4:5], s[4:5], 0x8
	v_mov_b32_e32 v2, 0
	v_mov_b32_e32 v3, 0
	;; [unrolled: 1-line block ×8, first 2 shown]
                                        ; implicit-def: $vgpr16
                                        ; implicit-def: $vgpr32
	s_and_saveexec_b64 s[2:3], vcc
	s_cbranch_execz .LBB0_5
; %bb.4:
	v_add_u32_e32 v4, 0x800, v107
	ds_read2_b64 v[12:15], v4 offset0:3 offset1:101
	v_add_u32_e32 v4, 0xc00, v107
	v_add_u32_e32 v16, 0x1000, v107
	ds_read2_b64 v[0:3], v107 offset0:63 offset1:161
	ds_read2_b64 v[4:7], v4 offset0:71 offset1:169
	;; [unrolled: 1-line block ×3, first 2 shown]
	ds_read_b64 v[32:33], v107 offset:6776
.LBB0_5:
	s_or_b64 exec, exec, s[2:3]
	s_waitcnt lgkmcnt(0)
	v_add_f32_e32 v41, v10, v34
	v_add_f32_e32 v42, v11, v35
	v_sub_f32_e32 v10, v10, v34
	v_sub_f32_e32 v11, v11, v35
	v_add_f32_e32 v43, v24, v30
	v_add_f32_e32 v46, v25, v31
	v_sub_f32_e32 v24, v24, v30
	v_sub_f32_e32 v25, v25, v31
	v_mul_f32_e32 v31, 0x3f248dbb, v10
	v_mul_f32_e32 v30, 0x3f248dbb, v11
	v_sub_f32_e32 v49, v20, v22
	v_sub_f32_e32 v50, v21, v23
	v_add_f32_e32 v47, v26, v28
	v_add_f32_e32 v48, v27, v29
	v_sub_f32_e32 v26, v26, v28
	v_sub_f32_e32 v27, v27, v29
	v_fmac_f32_e32 v31, 0x3f7c1c5c, v24
	v_fmac_f32_e32 v30, 0x3f7c1c5c, v25
	v_mul_f32_e32 v38, 0xbf248dbb, v49
	v_mul_f32_e32 v37, 0xbf248dbb, v50
	v_add_co_u32_e64 v36, s[2:3], 63, v108
	v_fmac_f32_e32 v31, 0x3f5db3d7, v26
	v_fmac_f32_e32 v30, 0x3f5db3d7, v27
	;; [unrolled: 1-line block ×6, first 2 shown]
	s_mov_b32 s2, 0xbf248dbb
	v_fmac_f32_e32 v38, 0xbf5db3d7, v26
	v_fmac_f32_e32 v37, 0xbf5db3d7, v27
	v_add_f32_e32 v39, v49, v10
	v_add_f32_e32 v40, v50, v11
	v_mul_f32_e32 v49, 0x3f7c1c5c, v49
	v_mul_f32_e32 v50, 0x3f7c1c5c, v50
	v_fmac_f32_e32 v38, 0x3eaf1d44, v24
	v_fmac_f32_e32 v37, 0x3eaf1d44, v25
	v_sub_f32_e32 v44, v39, v24
	v_sub_f32_e32 v45, v40, v25
	v_fma_f32 v24, v24, s2, -v49
	v_fma_f32 v25, v25, s2, -v50
	v_add_f32_e32 v55, v43, v41
	v_add_f32_e32 v56, v46, v42
	v_fmac_f32_e32 v24, 0x3f5db3d7, v26
	v_fmac_f32_e32 v25, 0x3f5db3d7, v27
	;; [unrolled: 1-line block ×4, first 2 shown]
	v_add_f32_e32 v10, v47, v55
	v_add_f32_e32 v11, v48, v56
	;; [unrolled: 1-line block ×5, first 2 shown]
	v_mov_b32_e32 v34, v8
	v_add_f32_e32 v10, v22, v10
	v_add_f32_e32 v11, v23, v11
	v_mov_b32_e32 v28, v8
	v_mov_b32_e32 v29, v9
	v_add_f32_e32 v52, v21, v23
	v_fmac_f32_e32 v34, 0x3f441b7d, v51
	v_mov_b32_e32 v35, v9
	v_add_f32_e32 v39, v47, v8
	v_add_f32_e32 v40, v48, v9
	v_add_f32_e32 v22, v10, v8
	v_add_f32_e32 v23, v11, v9
	v_fmac_f32_e32 v8, 0x3f441b7d, v43
	v_fmac_f32_e32 v9, 0x3f441b7d, v46
	;; [unrolled: 1-line block ×8, first 2 shown]
	v_fmac_f32_e32 v34, -0.5, v47
	v_fmac_f32_e32 v8, -0.5, v47
	;; [unrolled: 1-line block ×3, first 2 shown]
	v_fmac_f32_e32 v29, 0x3f441b7d, v42
	v_fmac_f32_e32 v28, 0x3e31d0d4, v43
	v_fmac_f32_e32 v35, -0.5, v48
	v_fmac_f32_e32 v34, 0xbf708fb2, v43
	v_fmac_f32_e32 v8, 0xbf708fb2, v41
	;; [unrolled: 1-line block ×3, first 2 shown]
	v_add_f32_e32 v41, v32, v2
	v_add_f32_e32 v42, v33, v3
	;; [unrolled: 1-line block ×4, first 2 shown]
	v_sub_f32_e32 v32, v2, v32
	v_sub_f32_e32 v33, v3, v33
	;; [unrolled: 1-line block ×4, first 2 shown]
	v_mov_b32_e32 v2, v0
	v_mov_b32_e32 v3, v1
	v_fmac_f32_e32 v29, 0x3e31d0d4, v46
	v_fmac_f32_e32 v28, -0.5, v47
	v_fmac_f32_e32 v35, 0xbf708fb2, v46
	v_add_f32_e32 v46, v25, v8
	v_sub_f32_e32 v47, v9, v24
	v_mul_f32_e32 v8, 0x3f7c1c5c, v12
	v_mul_f32_e32 v9, 0x3f7c1c5c, v13
	v_fmac_f32_e32 v2, 0x3f441b7d, v41
	v_fmac_f32_e32 v3, 0x3f441b7d, v42
	v_fmac_f32_e32 v29, -0.5, v48
	v_add_f32_e32 v20, v16, v14
	v_add_f32_e32 v21, v17, v15
	v_sub_f32_e32 v16, v14, v16
	v_sub_f32_e32 v17, v15, v17
	v_fmac_f32_e32 v8, 0x3f248dbb, v32
	v_fmac_f32_e32 v9, 0x3f248dbb, v33
	;; [unrolled: 1-line block ×6, first 2 shown]
	v_add_f32_e32 v57, v51, v55
	v_add_f32_e32 v58, v52, v56
	v_fmac_f32_e32 v8, 0x3f5db3d7, v16
	v_fmac_f32_e32 v9, 0x3f5db3d7, v17
	v_sub_f32_e32 v18, v4, v6
	v_sub_f32_e32 v19, v5, v7
	v_fmac_f32_e32 v2, -0.5, v20
	v_fmac_f32_e32 v3, -0.5, v21
	v_add_f32_e32 v51, v6, v4
	v_add_f32_e32 v52, v7, v5
	v_fmac_f32_e32 v8, 0x3eaf1d44, v18
	v_fmac_f32_e32 v9, 0x3eaf1d44, v19
	;; [unrolled: 1-line block ×4, first 2 shown]
	v_add_f32_e32 v2, v2, v9
	v_sub_f32_e32 v3, v3, v8
	v_fma_f32 v89, -2.0, v9, v2
	v_fma_f32 v90, 2.0, v8, v3
	v_mov_b32_e32 v8, v0
	v_mov_b32_e32 v9, v1
	v_mul_f32_e32 v10, 0xbf248dbb, v18
	v_mul_f32_e32 v11, 0xbf248dbb, v19
	v_fmac_f32_e32 v8, 0x3f441b7d, v51
	v_fmac_f32_e32 v9, 0x3f441b7d, v52
	;; [unrolled: 1-line block ×8, first 2 shown]
	v_fmac_f32_e32 v8, -0.5, v20
	v_fmac_f32_e32 v9, -0.5, v21
	v_fmac_f32_e32 v10, 0x3eaf1d44, v12
	v_fmac_f32_e32 v11, 0x3eaf1d44, v13
	;; [unrolled: 1-line block ×4, first 2 shown]
	v_add_f32_e32 v8, v11, v8
	v_sub_f32_e32 v9, v9, v10
	v_fma_f32 v26, -2.0, v11, v8
	v_fma_f32 v27, 2.0, v10, v9
	v_add_f32_e32 v10, v32, v18
	v_add_f32_e32 v11, v33, v19
	v_mul_f32_e32 v18, 0x3f7c1c5c, v18
	v_mul_f32_e32 v19, 0x3f7c1c5c, v19
	v_fma_f32 v48, -2.0, v25, v46
	v_fma_f32 v49, 2.0, v24, v47
	v_sub_f32_e32 v24, v10, v12
	v_sub_f32_e32 v25, v11, v13
	v_fma_f32 v18, v12, s2, -v18
	v_fma_f32 v19, v13, s2, -v19
	v_mov_b32_e32 v12, v0
	v_mov_b32_e32 v13, v1
	v_fmac_f32_e32 v12, 0x3f441b7d, v43
	v_fmac_f32_e32 v13, 0x3f441b7d, v50
	v_add_f32_e32 v14, v41, v43
	v_add_f32_e32 v15, v42, v50
	v_fmac_f32_e32 v12, 0x3e31d0d4, v51
	v_fmac_f32_e32 v13, 0x3e31d0d4, v52
	v_fmac_f32_e32 v39, -0.5, v57
	v_fmac_f32_e32 v40, -0.5, v58
	v_add_f32_e32 v10, v0, v20
	v_add_f32_e32 v11, v1, v21
	;; [unrolled: 1-line block ×4, first 2 shown]
	v_fmac_f32_e32 v18, 0x3f5db3d7, v16
	v_fmac_f32_e32 v19, 0x3f5db3d7, v17
	v_fmac_f32_e32 v12, -0.5, v20
	v_fmac_f32_e32 v13, -0.5, v21
	v_mul_f32_e32 v53, 0x3f5db3d7, v44
	v_mul_f32_e32 v54, 0x3f5db3d7, v45
	v_fmac_f32_e32 v39, 0x3f5db3d7, v45
	v_fmac_f32_e32 v40, 0xbf5db3d7, v44
	v_fmac_f32_e32 v10, -0.5, v55
	v_fmac_f32_e32 v11, -0.5, v56
	v_fmac_f32_e32 v18, 0x3eaf1d44, v32
	v_fmac_f32_e32 v19, 0x3eaf1d44, v33
	v_fmac_f32_e32 v12, 0xbf708fb2, v41
	v_fmac_f32_e32 v13, 0xbf708fb2, v42
	v_fma_f32 v44, -2.0, v54, v39
	v_fma_f32 v45, 2.0, v53, v40
	v_mul_f32_e32 v53, 0x3f5db3d7, v24
	v_mul_f32_e32 v54, 0x3f5db3d7, v25
	v_fmac_f32_e32 v10, 0x3f5db3d7, v25
	v_fmac_f32_e32 v11, 0xbf5db3d7, v24
	v_add_f32_e32 v12, v12, v19
	v_sub_f32_e32 v13, v13, v18
	v_mul_lo_u16_e32 v16, 9, v108
	v_add_f32_e32 v28, v30, v28
	v_sub_f32_e32 v29, v29, v31
	v_add_f32_e32 v34, v34, v37
	v_sub_f32_e32 v35, v35, v38
	v_fma_f32 v24, -2.0, v54, v10
	v_fma_f32 v25, 2.0, v53, v11
	v_fma_f32 v42, -2.0, v19, v12
	v_fma_f32 v43, 2.0, v18, v13
	v_lshlrev_b32_e32 v112, 3, v16
	v_mul_u32_u24_e32 v109, 9, v36
	v_fma_f32 v30, -2.0, v30, v28
	v_fma_f32 v31, 2.0, v31, v29
	v_fma_f32 v37, -2.0, v37, v34
	v_fma_f32 v38, 2.0, v38, v35
	s_waitcnt lgkmcnt(0)
	; wave barrier
	ds_write2_b64 v112, v[22:23], v[28:29] offset1:1
	ds_write2_b64 v112, v[34:35], v[39:40] offset0:2 offset1:3
	ds_write2_b64 v112, v[46:47], v[48:49] offset0:4 offset1:5
	;; [unrolled: 1-line block ×3, first 2 shown]
	ds_write_b64 v112, v[30:31] offset:64
	s_and_saveexec_b64 s[2:3], vcc
	s_cbranch_execz .LBB0_7
; %bb.6:
	v_add_f32_e32 v15, v15, v21
	v_add_f32_e32 v5, v15, v5
	;; [unrolled: 1-line block ×8, first 2 shown]
	v_lshlrev_b32_e32 v4, 3, v109
	ds_write2_b64 v4, v[0:1], v[2:3] offset1:1
	ds_write2_b64 v4, v[8:9], v[10:11] offset0:2 offset1:3
	ds_write2_b64 v4, v[12:13], v[42:43] offset0:4 offset1:5
	;; [unrolled: 1-line block ×3, first 2 shown]
	ds_write_b64 v4, v[89:90] offset:64
.LBB0_7:
	s_or_b64 exec, exec, s[2:3]
	v_mov_b32_e32 v4, 57
	v_mul_lo_u16_sdwa v0, v108, v4 dst_sel:DWORD dst_unused:UNUSED_PAD src0_sel:BYTE_0 src1_sel:DWORD
	v_lshrrev_b16_e32 v53, 9, v0
	v_mul_lo_u16_e32 v0, 9, v53
	v_sub_u16_e32 v0, v108, v0
	v_and_b32_e32 v55, 0xff, v0
	v_mul_lo_u16_sdwa v4, v36, v4 dst_sel:DWORD dst_unused:UNUSED_PAD src0_sel:BYTE_0 src1_sel:DWORD
	v_mul_u32_u24_e32 v0, 6, v55
	v_lshrrev_b16_e32 v65, 9, v4
	v_lshlrev_b32_e32 v28, 3, v0
	v_mul_lo_u16_e32 v4, 9, v65
	s_waitcnt lgkmcnt(0)
	; wave barrier
	s_waitcnt lgkmcnt(0)
	global_load_dwordx4 v[0:3], v28, s[4:5] offset:16
	global_load_dwordx4 v[8:11], v28, s[4:5]
	v_sub_u16_e32 v4, v36, v4
	v_and_b32_e32 v66, 0xff, v4
	v_mul_u32_u24_e32 v4, 6, v66
	v_lshlrev_b32_e32 v29, 3, v4
	global_load_dwordx4 v[20:23], v28, s[4:5] offset:32
	global_load_dwordx4 v[16:19], v29, s[4:5]
	global_load_dwordx4 v[12:15], v29, s[4:5] offset:16
	global_load_dwordx4 v[4:7], v29, s[4:5] offset:32
	v_add_u32_e32 v57, 0x400, v107
	ds_read2_b64 v[28:31], v107 offset1:63
	ds_read2_b64 v[32:35], v107 offset0:126 offset1:189
	v_add_u32_e32 v56, 0x800, v107
	v_add_u32_e32 v54, 0xc00, v107
	;; [unrolled: 1-line block ×4, first 2 shown]
	ds_read2_b64 v[36:39], v57 offset0:124 offset1:187
	ds_read2_b64 v[44:47], v56 offset0:122 offset1:185
	;; [unrolled: 1-line block ×5, first 2 shown]
	s_mov_b32 s2, 0x3f5ff5aa
	s_mov_b32 s3, 0x3f3bfb3b
	;; [unrolled: 1-line block ×4, first 2 shown]
	v_mul_u32_u24_e32 v53, 63, v53
	s_waitcnt lgkmcnt(0)
	; wave barrier
	s_waitcnt vmcnt(5) lgkmcnt(0)
	v_mul_f32_e32 v67, v45, v1
	s_waitcnt vmcnt(4)
	v_mul_f32_e32 v40, v33, v9
	v_mul_f32_e32 v41, v32, v9
	;; [unrolled: 1-line block ×4, first 2 shown]
	s_waitcnt vmcnt(3)
	v_mul_f32_e32 v98, v59, v21
	v_mul_f32_e32 v102, v92, v23
	v_mul_f32_e32 v96, v49, v3
	s_waitcnt vmcnt(2)
	v_mul_f32_e32 v99, v35, v17
	v_mul_f32_e32 v100, v34, v17
	;; [unrolled: 1-line block ×5, first 2 shown]
	v_fma_f32 v32, v32, v8, -v40
	v_fmac_f32_e32 v41, v33, v8
	v_fma_f32 v33, v36, v10, -v62
	v_fmac_f32_e32 v63, v37, v10
	v_fma_f32 v36, v58, v20, -v98
	v_fma_f32 v37, v91, v22, -v102
	v_mul_f32_e32 v95, v44, v1
	v_mul_f32_e32 v97, v48, v3
	;; [unrolled: 1-line block ×3, first 2 shown]
	s_waitcnt vmcnt(1)
	v_mul_f32_e32 v110, v46, v13
	v_mul_f32_e32 v111, v51, v15
	v_fma_f32 v99, v34, v16, -v99
	v_fmac_f32_e32 v100, v35, v16
	v_fma_f32 v62, v38, v18, -v103
	v_fma_f32 v34, v44, v0, -v67
	;; [unrolled: 1-line block ×3, first 2 shown]
	v_fmac_f32_e32 v101, v59, v20
	v_fmac_f32_e32 v105, v92, v22
	v_add_f32_e32 v38, v32, v37
	v_add_f32_e32 v40, v33, v36
	v_mul_f32_e32 v106, v47, v13
	v_mul_f32_e32 v113, v50, v15
	v_fmac_f32_e32 v104, v39, v18
	v_fmac_f32_e32 v95, v45, v0
	v_fmac_f32_e32 v110, v47, v12
	v_fmac_f32_e32 v97, v49, v2
	v_fma_f32 v47, v50, v14, -v111
	v_add_f32_e32 v39, v41, v105
	v_sub_f32_e32 v32, v32, v37
	v_sub_f32_e32 v37, v41, v105
	v_add_f32_e32 v41, v63, v101
	v_add_f32_e32 v44, v34, v35
	;; [unrolled: 1-line block ×3, first 2 shown]
	v_fmac_f32_e32 v113, v51, v14
	v_add_f32_e32 v45, v95, v97
	v_add_f32_e32 v51, v41, v39
	v_sub_f32_e32 v58, v40, v38
	v_sub_f32_e32 v38, v38, v44
	;; [unrolled: 1-line block ×3, first 2 shown]
	v_add_f32_e32 v44, v44, v50
	s_waitcnt vmcnt(0)
	v_mul_f32_e32 v114, v61, v5
	v_sub_f32_e32 v33, v33, v36
	v_sub_f32_e32 v34, v35, v34
	v_sub_f32_e32 v59, v41, v39
	v_sub_f32_e32 v39, v39, v45
	v_sub_f32_e32 v41, v45, v41
	v_add_f32_e32 v45, v45, v51
	v_add_f32_e32 v28, v28, v44
	v_mul_f32_e32 v115, v60, v5
	v_fma_f32 v48, v60, v4, -v114
	v_sub_f32_e32 v36, v63, v101
	v_sub_f32_e32 v35, v97, v95
	v_add_f32_e32 v60, v34, v33
	v_sub_f32_e32 v63, v34, v33
	v_sub_f32_e32 v33, v33, v32
	v_add_f32_e32 v29, v29, v45
	v_mov_b32_e32 v91, v28
	v_fmac_f32_e32 v115, v61, v4
	v_add_f32_e32 v61, v35, v36
	v_sub_f32_e32 v67, v35, v36
	v_sub_f32_e32 v34, v32, v34
	;; [unrolled: 1-line block ×3, first 2 shown]
	v_add_f32_e32 v32, v60, v32
	v_mul_f32_e32 v38, 0x3f4a47b2, v38
	v_mul_f32_e32 v39, 0x3f4a47b2, v39
	;; [unrolled: 1-line block ×6, first 2 shown]
	v_fmac_f32_e32 v91, 0xbf955555, v44
	v_mov_b32_e32 v44, v29
	v_mul_f32_e32 v116, v94, v7
	v_sub_f32_e32 v35, v37, v35
	v_add_f32_e32 v37, v61, v37
	v_mul_f32_e32 v61, 0xbf08b237, v67
	v_mul_f32_e32 v67, 0x3f5ff5aa, v36
	v_fmac_f32_e32 v44, 0xbf955555, v45
	v_fma_f32 v45, v58, s3, -v50
	v_fma_f32 v50, v59, s3, -v51
	;; [unrolled: 1-line block ×3, first 2 shown]
	v_fmac_f32_e32 v38, 0x3d64c772, v40
	v_fma_f32 v40, v59, s12, -v39
	v_fmac_f32_e32 v39, 0x3d64c772, v41
	v_fma_f32 v41, v33, s2, -v60
	v_fma_f32 v59, v34, s13, -v63
	v_mul_f32_e32 v117, v93, v7
	v_fma_f32 v49, v93, v6, -v116
	v_fmac_f32_e32 v60, 0x3eae86e6, v34
	v_fma_f32 v58, v36, s2, -v61
	v_fmac_f32_e32 v61, 0x3eae86e6, v35
	v_fma_f32 v63, v35, s13, -v67
	v_add_f32_e32 v92, v39, v44
	v_add_f32_e32 v39, v50, v44
	;; [unrolled: 1-line block ×3, first 2 shown]
	v_fmac_f32_e32 v41, 0x3ee1c552, v32
	v_fmac_f32_e32 v59, 0x3ee1c552, v32
	v_fma_f32 v46, v46, v12, -v106
	v_fmac_f32_e32 v117, v94, v6
	v_add_f32_e32 v67, v38, v91
	v_add_f32_e32 v38, v45, v91
	;; [unrolled: 1-line block ×3, first 2 shown]
	v_fmac_f32_e32 v60, 0x3ee1c552, v32
	v_fmac_f32_e32 v61, 0x3ee1c552, v37
	v_fmac_f32_e32 v58, 0x3ee1c552, v37
	v_fmac_f32_e32 v63, 0x3ee1c552, v37
	v_sub_f32_e32 v35, v44, v59
	v_add_f32_e32 v37, v41, v39
	v_sub_f32_e32 v39, v39, v41
	v_add_f32_e32 v41, v59, v44
	v_add_f32_e32 v50, v99, v49
	;; [unrolled: 1-line block ×4, first 2 shown]
	v_sub_f32_e32 v33, v92, v60
	v_add_f32_e32 v34, v63, v45
	v_sub_f32_e32 v40, v45, v63
	v_sub_f32_e32 v44, v67, v61
	v_add_f32_e32 v45, v60, v92
	v_add_f32_e32 v51, v100, v117
	;; [unrolled: 1-line block ×3, first 2 shown]
	v_sub_f32_e32 v48, v62, v48
	v_add_f32_e32 v62, v46, v47
	v_add_f32_e32 v67, v59, v50
	;; [unrolled: 1-line block ×4, first 2 shown]
	v_sub_f32_e32 v92, v59, v50
	v_sub_f32_e32 v50, v50, v62
	;; [unrolled: 1-line block ×3, first 2 shown]
	v_add_f32_e32 v62, v62, v67
	v_sub_f32_e32 v49, v99, v49
	v_sub_f32_e32 v61, v104, v115
	;; [unrolled: 1-line block ×7, first 2 shown]
	v_add_f32_e32 v63, v63, v91
	v_add_f32_e32 v30, v30, v62
	v_sub_f32_e32 v36, v38, v58
	v_add_f32_e32 v38, v58, v38
	v_sub_f32_e32 v58, v100, v117
	v_add_f32_e32 v94, v46, v48
	v_add_f32_e32 v95, v47, v61
	v_sub_f32_e32 v96, v46, v48
	v_sub_f32_e32 v97, v47, v61
	;; [unrolled: 1-line block ×3, first 2 shown]
	v_add_f32_e32 v31, v31, v63
	v_mov_b32_e32 v98, v30
	v_add_lshl_u32 v110, v53, v55, 3
	v_sub_f32_e32 v46, v49, v46
	v_sub_f32_e32 v47, v58, v47
	;; [unrolled: 1-line block ×3, first 2 shown]
	v_add_f32_e32 v49, v94, v49
	v_add_f32_e32 v58, v95, v58
	v_mul_f32_e32 v50, 0x3f4a47b2, v50
	v_mul_f32_e32 v51, 0x3f4a47b2, v51
	;; [unrolled: 1-line block ×7, first 2 shown]
	v_fmac_f32_e32 v98, 0xbf955555, v62
	v_mov_b32_e32 v62, v31
	ds_write2_b64 v110, v[28:29], v[32:33] offset1:9
	ds_write2_b64 v110, v[34:35], v[36:37] offset0:18 offset1:27
	ds_write2_b64 v110, v[38:39], v[40:41] offset0:36 offset1:45
	ds_write_b64 v110, v[44:45] offset:432
	v_mad_u64_u32 v[40:41], s[4:5], v108, 48, s[4:5]
	v_mul_f32_e32 v97, 0x3f5ff5aa, v61
	v_fmac_f32_e32 v62, 0xbf955555, v63
	v_fma_f32 v63, v92, s3, -v67
	v_fma_f32 v67, v93, s3, -v91
	;; [unrolled: 1-line block ×3, first 2 shown]
	v_fmac_f32_e32 v50, 0x3d64c772, v59
	v_fma_f32 v59, v93, s12, -v51
	v_fmac_f32_e32 v51, 0x3d64c772, v60
	v_fma_f32 v60, v48, s2, -v94
	;; [unrolled: 2-line block ×4, first 2 shown]
	v_fma_f32 v93, v47, s13, -v97
	v_add_f32_e32 v96, v50, v98
	v_add_f32_e32 v97, v51, v62
	;; [unrolled: 1-line block ×5, first 2 shown]
	v_fmac_f32_e32 v94, 0x3ee1c552, v49
	v_fmac_f32_e32 v95, 0x3ee1c552, v58
	;; [unrolled: 1-line block ×4, first 2 shown]
	v_mul_u32_u24_e32 v28, 63, v65
	v_add_f32_e32 v91, v91, v98
	v_fmac_f32_e32 v60, 0x3ee1c552, v49
	v_fmac_f32_e32 v93, 0x3ee1c552, v58
	v_add_f32_e32 v46, v95, v96
	v_sub_f32_e32 v47, v97, v94
	v_sub_f32_e32 v49, v62, v92
	;; [unrolled: 1-line block ×3, first 2 shown]
	v_add_f32_e32 v58, v61, v63
	v_add_f32_e32 v61, v92, v62
	v_sub_f32_e32 v62, v96, v95
	v_add_f32_e32 v63, v94, v97
	v_add_lshl_u32 v111, v28, v66, 3
	v_add_f32_e32 v48, v93, v91
	v_add_f32_e32 v51, v60, v67
	v_sub_f32_e32 v59, v67, v60
	v_sub_f32_e32 v60, v91, v93
	ds_write2_b64 v111, v[30:31], v[46:47] offset1:9
	ds_write2_b64 v111, v[48:49], v[50:51] offset0:18 offset1:27
	ds_write2_b64 v111, v[58:59], v[60:61] offset0:36 offset1:45
	ds_write_b64 v111, v[62:63] offset:432
	s_waitcnt lgkmcnt(0)
	; wave barrier
	s_waitcnt lgkmcnt(0)
	global_load_dwordx4 v[36:39], v[40:41], off offset:432
	global_load_dwordx4 v[32:35], v[40:41], off offset:448
	;; [unrolled: 1-line block ×3, first 2 shown]
	ds_read2_b64 v[44:47], v107 offset0:126 offset1:189
	ds_read2_b64 v[48:51], v57 offset0:124 offset1:187
	;; [unrolled: 1-line block ×5, first 2 shown]
	s_movk_i32 s4, 0x1000
	s_waitcnt vmcnt(2) lgkmcnt(4)
	v_mul_f32_e32 v53, v45, v37
	v_fma_f32 v53, v44, v36, -v53
	v_mul_f32_e32 v55, v44, v37
	s_waitcnt lgkmcnt(3)
	v_mul_f32_e32 v44, v49, v39
	v_fma_f32 v62, v48, v38, -v44
	v_mul_f32_e32 v48, v48, v39
	s_waitcnt vmcnt(1) lgkmcnt(2)
	v_mul_f32_e32 v44, v59, v33
	v_fmac_f32_e32 v48, v49, v38
	v_fma_f32 v49, v58, v32, -v44
	v_mul_f32_e32 v44, v47, v37
	v_fma_f32 v63, v46, v36, -v44
	v_mul_f32_e32 v58, v58, v33
	s_waitcnt lgkmcnt(1)
	v_mul_f32_e32 v44, v92, v35
	v_fmac_f32_e32 v58, v59, v32
	v_fma_f32 v59, v91, v34, -v44
	v_mul_f32_e32 v44, v51, v39
	v_fma_f32 v66, v50, v38, -v44
	v_mul_f32_e32 v67, v50, v39
	s_waitcnt vmcnt(0) lgkmcnt(0)
	v_mul_f32_e32 v44, v96, v29
	v_fmac_f32_e32 v67, v51, v38
	v_fma_f32 v51, v95, v28, -v44
	v_mul_f32_e32 v44, v61, v33
	v_mul_f32_e32 v65, v46, v37
	;; [unrolled: 1-line block ×3, first 2 shown]
	v_fma_f32 v91, v60, v32, -v44
	v_mul_f32_e32 v44, v94, v35
	v_fmac_f32_e32 v55, v45, v36
	v_fmac_f32_e32 v65, v47, v36
	;; [unrolled: 1-line block ×3, first 2 shown]
	v_mul_f32_e32 v92, v60, v33
	v_mul_f32_e32 v60, v95, v29
	v_fma_f32 v95, v93, v34, -v44
	ds_read2_b64 v[44:47], v52 offset0:116 offset1:179
	v_fmac_f32_e32 v92, v61, v32
	v_mul_f32_e32 v93, v93, v35
	v_mul_f32_e32 v61, v98, v29
	v_fmac_f32_e32 v93, v94, v34
	v_fma_f32 v94, v97, v28, -v61
	s_waitcnt lgkmcnt(0)
	v_mul_f32_e32 v61, v45, v31
	v_fma_f32 v61, v44, v30, -v61
	v_fmac_f32_e32 v60, v96, v28
	v_mul_f32_e32 v96, v97, v29
	v_mul_f32_e32 v97, v44, v31
	;; [unrolled: 1-line block ×3, first 2 shown]
	v_add_f32_e32 v100, v53, v61
	v_add_f32_e32 v101, v62, v51
	v_fmac_f32_e32 v96, v98, v28
	v_fma_f32 v98, v46, v30, -v44
	v_mul_f32_e32 v99, v46, v31
	v_add_f32_e32 v102, v49, v59
	v_add_f32_e32 v44, v101, v100
	v_fmac_f32_e32 v97, v45, v30
	v_fmac_f32_e32 v99, v47, v30
	v_add_f32_e32 v103, v102, v44
	ds_read2_b64 v[44:47], v107 offset1:63
	v_add_f32_e32 v104, v55, v97
	v_add_f32_e32 v105, v48, v60
	;; [unrolled: 1-line block ×4, first 2 shown]
	v_sub_f32_e32 v51, v62, v51
	v_sub_f32_e32 v49, v59, v49
	v_add_f32_e32 v113, v106, v113
	s_waitcnt lgkmcnt(0)
	v_add_f32_e32 v44, v44, v103
	v_sub_f32_e32 v53, v53, v61
	v_sub_f32_e32 v48, v48, v60
	;; [unrolled: 1-line block ×5, first 2 shown]
	v_add_f32_e32 v100, v49, v51
	v_add_f32_e32 v45, v45, v113
	v_sub_f32_e32 v55, v55, v97
	v_sub_f32_e32 v60, v102, v101
	;; [unrolled: 1-line block ×8, first 2 shown]
	v_add_f32_e32 v53, v100, v53
	v_add_f32_e32 v49, v50, v48
	v_sub_f32_e32 v100, v50, v48
	v_mov_b32_e32 v105, v44
	v_sub_f32_e32 v50, v55, v50
	v_sub_f32_e32 v104, v48, v55
	v_add_f32_e32 v55, v49, v55
	v_fmac_f32_e32 v105, 0xbf955555, v103
	v_mov_b32_e32 v103, v45
	v_mul_f32_e32 v48, 0x3f4a47b2, v59
	v_mul_f32_e32 v49, 0x3f4a47b2, v62
	;; [unrolled: 1-line block ×4, first 2 shown]
	v_fmac_f32_e32 v103, 0xbf955555, v113
	v_fma_f32 v59, v58, s12, -v48
	v_fmac_f32_e32 v48, 0x3d64c772, v60
	v_fma_f32 v101, v61, s12, -v49
	;; [unrolled: 2-line block ×4, first 2 shown]
	v_fmac_f32_e32 v100, 0x3eae86e6, v50
	v_add_f32_e32 v122, v48, v105
	v_add_f32_e32 v123, v49, v103
	v_fmac_f32_e32 v62, 0x3ee1c552, v53
	v_fmac_f32_e32 v100, 0x3ee1c552, v55
	v_add_f32_e32 v48, v100, v122
	v_sub_f32_e32 v49, v123, v62
	v_mul_f32_e32 v51, 0x3f5ff5aa, v51
	s_waitcnt lgkmcnt(0)
	; wave barrier
	ds_write2_b64 v107, v[44:45], v[48:49] offset1:63
	v_mul_f32_e32 v44, 0x3d64c772, v60
	v_fma_f32 v60, v102, s13, -v51
	v_mul_f32_e32 v51, 0x3f5ff5aa, v104
	v_fma_f32 v44, v58, s3, -v44
	v_mul_f32_e32 v45, 0x3d64c772, v97
	v_fma_f32 v58, v50, s13, -v51
	v_add_f32_e32 v114, v63, v98
	v_add_f32_e32 v115, v66, v94
	;; [unrolled: 1-line block ×5, first 2 shown]
	v_fma_f32 v45, v61, s3, -v45
	v_add_f32_e32 v59, v59, v105
	v_add_f32_e32 v61, v101, v103
	v_fmac_f32_e32 v60, 0x3ee1c552, v53
	v_fmac_f32_e32 v58, 0x3ee1c552, v55
	v_add_f32_e32 v117, v115, v114
	v_add_f32_e32 v120, v92, v93
	;; [unrolled: 1-line block ×3, first 2 shown]
	v_fmac_f32_e32 v113, 0x3ee1c552, v55
	v_add_f32_e32 v50, v58, v59
	v_sub_f32_e32 v51, v61, v60
	v_sub_f32_e32 v58, v59, v58
	v_add_f32_e32 v59, v60, v61
	v_add_f32_e32 v61, v62, v123
	v_sub_f32_e32 v55, v65, v99
	v_sub_f32_e32 v62, v66, v94
	;; [unrolled: 1-line block ×6, first 2 shown]
	v_add_f32_e32 v117, v116, v117
	v_add_f32_e32 v121, v120, v121
	v_fmac_f32_e32 v106, 0x3ee1c552, v53
	v_sub_f32_e32 v60, v122, v100
	v_sub_f32_e32 v53, v63, v98
	;; [unrolled: 1-line block ×6, first 2 shown]
	v_add_f32_e32 v96, v65, v62
	v_sub_f32_e32 v97, v65, v62
	v_mul_f32_e32 v91, 0x3f4a47b2, v91
	v_mul_f32_e32 v100, 0x3d64c772, v92
	v_add_f32_e32 v46, v46, v117
	v_add_f32_e32 v47, v47, v121
	v_sub_f32_e32 v93, v119, v118
	v_sub_f32_e32 v65, v53, v65
	;; [unrolled: 1-line block ×3, first 2 shown]
	v_add_f32_e32 v53, v96, v53
	v_add_f32_e32 v96, v66, v63
	v_sub_f32_e32 v98, v66, v63
	v_sub_f32_e32 v63, v63, v55
	v_fma_f32 v100, v67, s3, -v100
	v_fma_f32 v67, v67, s12, -v91
	v_fmac_f32_e32 v91, 0x3d64c772, v92
	v_mul_f32_e32 v92, 0x3f4a47b2, v94
	v_mul_f32_e32 v94, 0x3d64c772, v95
	v_mul_f32_e32 v101, 0xbf08b237, v97
	v_sub_f32_e32 v66, v55, v66
	v_add_f32_e32 v55, v96, v55
	v_mov_b32_e32 v96, v46
	v_mov_b32_e32 v99, v47
	v_fma_f32 v94, v93, s3, -v94
	v_fma_f32 v93, v93, s12, -v92
	v_fmac_f32_e32 v92, 0x3d64c772, v95
	v_mul_f32_e32 v95, 0x3f5ff5aa, v62
	v_fma_f32 v97, v62, s2, -v101
	v_mul_f32_e32 v98, 0xbf08b237, v98
	v_mul_f32_e32 v62, 0x3f5ff5aa, v63
	v_add_f32_e32 v48, v44, v105
	v_add_f32_e32 v49, v45, v103
	v_fmac_f32_e32 v96, 0xbf955555, v117
	v_fmac_f32_e32 v99, 0xbf955555, v121
	;; [unrolled: 1-line block ×3, first 2 shown]
	v_fma_f32 v95, v65, s13, -v95
	v_fma_f32 v65, v63, s2, -v98
	v_fmac_f32_e32 v98, 0x3eae86e6, v66
	v_fma_f32 v102, v66, s13, -v62
	v_sub_f32_e32 v44, v48, v113
	v_add_f32_e32 v45, v106, v49
	v_add_f32_e32 v103, v91, v96
	;; [unrolled: 1-line block ×7, first 2 shown]
	v_fmac_f32_e32 v101, 0x3ee1c552, v53
	v_fmac_f32_e32 v98, 0x3ee1c552, v55
	;; [unrolled: 1-line block ×6, first 2 shown]
	v_add_f32_e32 v48, v113, v48
	v_sub_f32_e32 v49, v49, v106
	v_sub_f32_e32 v62, v66, v65
	v_add_f32_e32 v63, v97, v91
	v_add_f32_e32 v65, v65, v66
	v_sub_f32_e32 v66, v91, v97
	v_add_f32_e32 v91, v102, v67
	v_sub_f32_e32 v92, v94, v95
	v_sub_f32_e32 v93, v67, v102
	v_add_f32_e32 v94, v95, v94
	v_add_f32_e32 v95, v98, v103
	v_sub_f32_e32 v96, v100, v101
	v_sub_f32_e32 v97, v103, v98
	v_add_f32_e32 v98, v101, v100
	ds_write2_b64 v107, v[50:51], v[44:45] offset0:126 offset1:189
	ds_write2_b64 v57, v[48:49], v[58:59] offset0:124 offset1:187
	;; [unrolled: 1-line block ×6, first 2 shown]
	v_mul_i32_i24_e32 v45, 0xffffffd8, v108
	v_mul_hi_i32_i24_e32 v44, 0xffffffd8, v108
	v_add_co_u32_e64 v40, s[2:3], v40, v45
	v_addc_co_u32_e64 v41, s[2:3], v41, v44, s[2:3]
	s_waitcnt lgkmcnt(0)
	; wave barrier
	s_waitcnt lgkmcnt(0)
	global_load_dwordx2 v[91:92], v[40:41], off offset:3960
	v_add_co_u32_e64 v44, s[2:3], s4, v40
	v_addc_co_u32_e64 v45, s[2:3], 0, v41, s[2:3]
	global_load_dwordx2 v[93:94], v[44:45], off offset:368
	global_load_dwordx2 v[95:96], v[44:45], off offset:872
	;; [unrolled: 1-line block ×6, first 2 shown]
	ds_read2_b64 v[44:47], v54 offset0:120 offset1:183
	ds_read2_b64 v[48:51], v64 offset0:118 offset1:181
	;; [unrolled: 1-line block ×3, first 2 shown]
	s_movk_i32 s2, 0x1b90
	s_waitcnt vmcnt(6) lgkmcnt(2)
	v_mul_f32_e32 v40, v45, v92
	v_fma_f32 v40, v44, v91, -v40
	v_mul_f32_e32 v41, v44, v92
	s_waitcnt vmcnt(5)
	v_mul_f32_e32 v44, v47, v94
	v_fma_f32 v53, v46, v93, -v44
	v_mul_f32_e32 v55, v46, v94
	s_waitcnt vmcnt(4) lgkmcnt(1)
	v_mul_f32_e32 v44, v49, v96
	v_fmac_f32_e32 v41, v45, v91
	v_fmac_f32_e32 v55, v47, v93
	v_fma_f32 v62, v48, v95, -v44
	ds_read2_b64 v[44:47], v52 offset0:116 offset1:179
	v_mul_f32_e32 v63, v48, v96
	s_waitcnt vmcnt(3)
	v_mul_f32_e32 v48, v51, v98
	v_fma_f32 v67, v50, v97, -v48
	v_fmac_f32_e32 v63, v49, v95
	s_waitcnt vmcnt(2) lgkmcnt(0)
	v_mul_f32_e32 v48, v45, v100
	v_fma_f32 v126, v44, v99, -v48
	v_mul_f32_e32 v127, v44, v100
	s_waitcnt vmcnt(1)
	v_mul_f32_e32 v44, v47, v102
	v_mul_f32_e32 v129, v46, v102
	v_fmac_f32_e32 v127, v45, v99
	v_fma_f32 v128, v46, v101, -v44
	v_fmac_f32_e32 v129, v47, v101
	ds_read2_b64 v[44:47], v107 offset1:63
	s_waitcnt vmcnt(0)
	v_mul_f32_e32 v48, v61, v104
	v_mul_f32_e32 v49, v60, v104
	;; [unrolled: 1-line block ×3, first 2 shown]
	v_fma_f32 v48, v60, v103, -v48
	v_fmac_f32_e32 v49, v61, v103
	v_fmac_f32_e32 v125, v51, v97
	s_waitcnt lgkmcnt(0)
	v_sub_f32_e32 v65, v44, v48
	v_sub_f32_e32 v66, v45, v49
	ds_read2_b64 v[48:51], v107 offset0:126 offset1:189
	v_sub_f32_e32 v105, v46, v40
	v_sub_f32_e32 v106, v47, v41
	v_fma_f32 v113, v44, 2.0, -v65
	v_fma_f32 v114, v45, 2.0, -v66
	s_waitcnt lgkmcnt(0)
	v_sub_f32_e32 v119, v50, v62
	v_sub_f32_e32 v120, v51, v63
	ds_read2_b64 v[60:63], v57 offset0:124 offset1:187
	v_sub_f32_e32 v117, v48, v53
	v_sub_f32_e32 v118, v49, v55
	v_mov_b32_e32 v53, s15
	v_fma_f32 v115, v46, 2.0, -v105
	v_fma_f32 v116, v47, 2.0, -v106
	;; [unrolled: 1-line block ×4, first 2 shown]
	s_waitcnt lgkmcnt(0)
	v_sub_f32_e32 v44, v60, v67
	v_sub_f32_e32 v45, v61, v125
	;; [unrolled: 1-line block ×6, first 2 shown]
	v_addc_co_u32_e64 v55, s[0:1], 0, v53, s[0:1]
	v_fma_f32 v123, v50, 2.0, -v119
	v_fma_f32 v124, v51, 2.0, -v120
	;; [unrolled: 1-line block ×8, first 2 shown]
	ds_write2_b64 v107, v[113:114], v[115:116] offset1:63
	ds_write2_b64 v54, v[105:106], v[117:118] offset0:120 offset1:183
	ds_write2_b64 v107, v[121:122], v[123:124] offset0:126 offset1:189
	;; [unrolled: 1-line block ×6, first 2 shown]
	v_add_co_u32_e64 v52, s[0:1], s4, v68
	v_addc_co_u32_e64 v53, s[0:1], 0, v55, s[0:1]
	s_waitcnt lgkmcnt(0)
	; wave barrier
	s_waitcnt lgkmcnt(0)
	global_load_dwordx2 v[62:63], v[52:53], off offset:2960
	v_add_co_u32_e64 v52, s[0:1], s2, v68
	v_addc_co_u32_e64 v53, s[0:1], 0, v55, s[0:1]
	global_load_dwordx2 v[65:66], v[52:53], off offset:784
	global_load_dwordx2 v[105:106], v[52:53], off offset:1568
	;; [unrolled: 1-line block ×4, first 2 shown]
	s_movk_i32 s0, 0x2000
	v_add_co_u32_e64 v58, s[0:1], s0, v68
	v_addc_co_u32_e64 v59, s[0:1], 0, v55, s[0:1]
	s_movk_i32 s0, 0x3000
	v_add_co_u32_e64 v60, s[0:1], s0, v68
	v_addc_co_u32_e64 v61, s[0:1], 0, v55, s[0:1]
	global_load_dwordx2 v[121:122], v[58:59], off offset:3568
	global_load_dwordx2 v[123:124], v[60:61], off offset:256
	;; [unrolled: 1-line block ×4, first 2 shown]
	ds_read2_b64 v[58:61], v107 offset1:98
	s_waitcnt vmcnt(8) lgkmcnt(0)
	v_mul_f32_e32 v55, v59, v63
	v_mul_f32_e32 v114, v58, v63
	v_fma_f32 v113, v58, v62, -v55
	v_fmac_f32_e32 v114, v59, v62
	s_waitcnt vmcnt(7)
	v_mul_f32_e32 v55, v61, v66
	v_mul_f32_e32 v59, v60, v66
	v_fma_f32 v58, v60, v65, -v55
	v_fmac_f32_e32 v59, v61, v65
	ds_write2_b64 v107, v[113:114], v[58:59] offset1:98
	ds_read2_b64 v[58:61], v57 offset0:68 offset1:166
	ds_read2_b64 v[113:116], v56 offset0:136 offset1:234
	s_waitcnt vmcnt(6) lgkmcnt(1)
	v_mul_f32_e32 v55, v59, v106
	v_fma_f32 v62, v58, v105, -v55
	v_mul_f32_e32 v63, v58, v106
	s_waitcnt vmcnt(5)
	v_mul_f32_e32 v55, v61, v118
	v_mul_f32_e32 v66, v60, v118
	v_fmac_f32_e32 v63, v59, v105
	v_fma_f32 v65, v60, v117, -v55
	v_fmac_f32_e32 v66, v61, v117
	ds_read2_b64 v[58:61], v64 offset0:76 offset1:174
	s_waitcnt vmcnt(4) lgkmcnt(1)
	v_mul_f32_e32 v106, v113, v120
	ds_read_b64 v[117:118], v107 offset:6272
	v_mul_f32_e32 v55, v114, v120
	v_fmac_f32_e32 v106, v114, v119
	s_waitcnt vmcnt(1)
	v_mul_f32_e32 v114, v115, v126
	v_fma_f32 v105, v113, v119, -v55
	v_mul_f32_e32 v55, v116, v126
	v_fmac_f32_e32 v114, v116, v125
	s_waitcnt lgkmcnt(1)
	v_mul_f32_e32 v116, v58, v122
	v_fma_f32 v113, v115, v125, -v55
	v_mul_f32_e32 v55, v59, v122
	v_fmac_f32_e32 v116, v59, v121
	v_mul_f32_e32 v59, v60, v124
	v_fma_f32 v115, v58, v121, -v55
	v_mul_f32_e32 v55, v61, v124
	v_fmac_f32_e32 v59, v61, v123
	v_fma_f32 v58, v60, v123, -v55
	ds_write2_b64 v57, v[62:63], v[65:66] offset0:68 offset1:166
	ds_write2_b64 v56, v[105:106], v[113:114] offset0:136 offset1:234
	;; [unrolled: 1-line block ×3, first 2 shown]
	s_waitcnt vmcnt(0) lgkmcnt(3)
	v_mul_f32_e32 v55, v118, v128
	v_mul_f32_e32 v59, v117, v128
	v_fma_f32 v58, v117, v127, -v55
	v_fmac_f32_e32 v59, v118, v127
	ds_write_b64 v107, v[58:59] offset:6272
	s_and_saveexec_b64 s[2:3], vcc
	s_cbranch_execz .LBB0_9
; %bb.8:
	global_load_dwordx2 v[62:63], v[52:53], off offset:504
	ds_read2_b64 v[58:61], v107 offset0:63 offset1:161
	s_waitcnt vmcnt(0) lgkmcnt(0)
	v_mul_f32_e32 v55, v59, v63
	v_mul_f32_e32 v66, v58, v63
	v_fma_f32 v65, v58, v62, -v55
	v_fmac_f32_e32 v66, v59, v62
	global_load_dwordx2 v[58:59], v[52:53], off offset:1288
	s_waitcnt vmcnt(0)
	v_mul_f32_e32 v55, v61, v59
	v_mul_f32_e32 v63, v60, v59
	v_fma_f32 v62, v60, v58, -v55
	v_fmac_f32_e32 v63, v61, v58
	ds_write2_b64 v107, v[65:66], v[62:63] offset0:63 offset1:161
	global_load_dwordx2 v[62:63], v[52:53], off offset:2072
	ds_read2_b64 v[58:61], v56 offset0:3 offset1:101
	s_waitcnt vmcnt(0) lgkmcnt(0)
	v_mul_f32_e32 v55, v59, v63
	v_mul_f32_e32 v66, v58, v63
	v_fma_f32 v65, v58, v62, -v55
	v_fmac_f32_e32 v66, v59, v62
	global_load_dwordx2 v[58:59], v[52:53], off offset:2856
	s_waitcnt vmcnt(0)
	v_mul_f32_e32 v55, v61, v59
	v_mul_f32_e32 v63, v60, v59
	v_fma_f32 v62, v60, v58, -v55
	v_fmac_f32_e32 v63, v61, v58
	ds_write2_b64 v56, v[65:66], v[62:63] offset0:3 offset1:101
	global_load_dwordx2 v[62:63], v[52:53], off offset:3640
	ds_read2_b64 v[58:61], v54 offset0:71 offset1:169
	s_waitcnt vmcnt(0) lgkmcnt(0)
	v_mul_f32_e32 v55, v59, v63
	v_fma_f32 v65, v58, v62, -v55
	v_mul_f32_e32 v66, v58, v63
	v_add_co_u32_e64 v58, s[0:1], s4, v52
	v_fmac_f32_e32 v66, v59, v62
	v_addc_co_u32_e64 v59, s[0:1], 0, v53, s[0:1]
	global_load_dwordx2 v[52:53], v[58:59], off offset:328
	s_waitcnt vmcnt(0)
	v_mul_f32_e32 v55, v61, v53
	v_mul_f32_e32 v63, v60, v53
	v_fma_f32 v62, v60, v52, -v55
	v_fmac_f32_e32 v63, v61, v52
	global_load_dwordx2 v[60:61], v[58:59], off offset:1112
	ds_write2_b64 v54, v[65:66], v[62:63] offset0:71 offset1:169
	ds_read2_b64 v[52:55], v64 offset0:139 offset1:237
	s_waitcnt vmcnt(0) lgkmcnt(0)
	v_mul_f32_e32 v62, v53, v61
	v_mul_f32_e32 v63, v52, v61
	v_fma_f32 v62, v52, v60, -v62
	v_fmac_f32_e32 v63, v53, v60
	global_load_dwordx2 v[52:53], v[58:59], off offset:1896
	s_waitcnt vmcnt(0)
	v_mul_f32_e32 v60, v55, v53
	v_mul_f32_e32 v61, v54, v53
	v_fma_f32 v60, v54, v52, -v60
	v_fmac_f32_e32 v61, v55, v52
	global_load_dwordx2 v[54:55], v[58:59], off offset:2680
	ds_read_b64 v[52:53], v107 offset:6776
	ds_write2_b64 v64, v[62:63], v[60:61] offset0:139 offset1:237
	s_waitcnt vmcnt(0) lgkmcnt(1)
	v_mul_f32_e32 v58, v53, v55
	v_mul_f32_e32 v59, v52, v55
	v_fma_f32 v58, v52, v54, -v58
	v_fmac_f32_e32 v59, v53, v54
	ds_write_b64 v107, v[58:59] offset:6776
.LBB0_9:
	s_or_b64 exec, exec, s[2:3]
	s_waitcnt lgkmcnt(0)
	; wave barrier
	s_waitcnt lgkmcnt(0)
	ds_read2_b64 v[52:55], v107 offset1:98
	ds_read2_b64 v[60:63], v57 offset0:68 offset1:166
	ds_read2_b64 v[56:59], v56 offset0:136 offset1:234
	;; [unrolled: 1-line block ×3, first 2 shown]
	ds_read_b64 v[105:106], v107 offset:6272
	s_and_saveexec_b64 s[0:1], vcc
	s_cbranch_execz .LBB0_11
; %bb.10:
	v_add_u32_e32 v24, 0x800, v107
	ds_read2_b64 v[48:51], v24 offset0:3 offset1:101
	v_add_u32_e32 v24, 0xc00, v107
	ds_read2_b64 v[40:43], v24 offset0:71 offset1:169
	;; [unrolled: 2-line block ×3, first 2 shown]
	ds_read2_b64 v[24:27], v24 offset0:139 offset1:237
	ds_read_b64 v[89:90], v107 offset:6776
.LBB0_11:
	s_or_b64 exec, exec, s[0:1]
	s_waitcnt lgkmcnt(0)
	v_sub_f32_e32 v119, v54, v105
	v_sub_f32_e32 v120, v55, v106
	v_add_f32_e32 v115, v60, v66
	v_add_f32_e32 v116, v61, v67
	v_sub_f32_e32 v121, v60, v66
	v_sub_f32_e32 v122, v61, v67
	v_mul_f32_e32 v61, 0x3f248dbb, v119
	v_mul_f32_e32 v60, 0x3f248dbb, v120
	v_sub_f32_e32 v125, v56, v58
	v_sub_f32_e32 v126, v57, v59
	v_add_f32_e32 v117, v62, v64
	v_add_f32_e32 v118, v63, v65
	v_sub_f32_e32 v123, v62, v64
	v_sub_f32_e32 v124, v63, v65
	v_fmac_f32_e32 v61, 0x3f7c1c5c, v121
	v_fmac_f32_e32 v60, 0x3f7c1c5c, v122
	v_mul_f32_e32 v65, 0xbf248dbb, v125
	v_mul_f32_e32 v64, 0xbf248dbb, v126
	v_fmac_f32_e32 v61, 0x3f5db3d7, v123
	v_fmac_f32_e32 v60, 0x3f5db3d7, v124
	;; [unrolled: 1-line block ×6, first 2 shown]
	s_mov_b32 s2, 0xbf248dbb
	v_fmac_f32_e32 v65, 0xbf5db3d7, v123
	v_fmac_f32_e32 v64, 0xbf5db3d7, v124
	v_add_f32_e32 v66, v125, v119
	v_add_f32_e32 v67, v126, v120
	v_mul_f32_e32 v125, 0x3f7c1c5c, v125
	v_mul_f32_e32 v126, 0x3f7c1c5c, v126
	v_add_f32_e32 v113, v54, v105
	v_add_f32_e32 v114, v55, v106
	v_fmac_f32_e32 v65, 0x3eaf1d44, v121
	v_fmac_f32_e32 v64, 0x3eaf1d44, v122
	v_sub_f32_e32 v105, v66, v121
	v_sub_f32_e32 v106, v67, v122
	v_fma_f32 v121, v121, s2, -v125
	v_fma_f32 v122, v122, s2, -v126
	v_add_f32_e32 v131, v115, v113
	v_add_f32_e32 v132, v116, v114
	v_fmac_f32_e32 v121, 0x3f5db3d7, v123
	v_fmac_f32_e32 v122, 0x3f5db3d7, v124
	;; [unrolled: 1-line block ×4, first 2 shown]
	v_add_f32_e32 v119, v117, v131
	v_add_f32_e32 v120, v118, v132
	;; [unrolled: 1-line block ×6, first 2 shown]
	v_mov_b32_e32 v54, v52
	v_mov_b32_e32 v55, v53
	v_mov_b32_e32 v62, v52
	v_mov_b32_e32 v63, v53
	v_add_f32_e32 v56, v58, v56
	v_add_f32_e32 v57, v59, v57
	v_fmac_f32_e32 v54, 0x3f441b7d, v113
	v_fmac_f32_e32 v55, 0x3f441b7d, v114
	;; [unrolled: 1-line block ×4, first 2 shown]
	v_add_f32_e32 v66, v117, v52
	v_add_f32_e32 v67, v118, v53
	;; [unrolled: 1-line block ×4, first 2 shown]
	v_fmac_f32_e32 v52, 0x3f441b7d, v115
	v_fmac_f32_e32 v53, 0x3f441b7d, v116
	v_fmac_f32_e32 v54, 0x3e31d0d4, v115
	v_fmac_f32_e32 v55, 0x3e31d0d4, v116
	v_fmac_f32_e32 v62, 0x3e31d0d4, v113
	v_fmac_f32_e32 v63, 0x3e31d0d4, v114
	v_fmac_f32_e32 v52, 0x3e31d0d4, v127
	v_fmac_f32_e32 v53, 0x3e31d0d4, v128
	v_fmac_f32_e32 v54, -0.5, v117
	v_fmac_f32_e32 v55, -0.5, v118
	;; [unrolled: 1-line block ×4, first 2 shown]
	v_add_f32_e32 v133, v127, v131
	v_add_f32_e32 v134, v128, v132
	v_fmac_f32_e32 v52, -0.5, v117
	v_fmac_f32_e32 v53, -0.5, v118
	v_fmac_f32_e32 v54, 0xbf708fb2, v127
	v_fmac_f32_e32 v55, 0xbf708fb2, v128
	v_fmac_f32_e32 v62, 0xbf708fb2, v115
	v_fmac_f32_e32 v63, 0xbf708fb2, v116
	v_fmac_f32_e32 v66, -0.5, v133
	v_fmac_f32_e32 v67, -0.5, v134
	v_fmac_f32_e32 v52, 0xbf708fb2, v113
	v_fmac_f32_e32 v53, 0xbf708fb2, v114
	v_sub_f32_e32 v54, v54, v60
	v_add_f32_e32 v55, v61, v55
	v_sub_f32_e32 v62, v62, v64
	v_add_f32_e32 v63, v65, v63
	v_mul_f32_e32 v129, 0x3f5db3d7, v105
	v_mul_f32_e32 v130, 0x3f5db3d7, v106
	v_fmac_f32_e32 v66, 0xbf5db3d7, v106
	v_fmac_f32_e32 v67, 0x3f5db3d7, v105
	v_sub_f32_e32 v52, v52, v122
	v_add_f32_e32 v53, v121, v53
	v_fma_f32 v60, 2.0, v60, v54
	v_fma_f32 v61, -2.0, v61, v55
	v_fma_f32 v64, 2.0, v64, v62
	v_fma_f32 v65, -2.0, v65, v63
	;; [unrolled: 2-line block ×4, first 2 shown]
	s_waitcnt lgkmcnt(0)
	; wave barrier
	ds_write2_b64 v112, v[56:57], v[54:55] offset1:1
	ds_write2_b64 v112, v[62:63], v[66:67] offset0:2 offset1:3
	ds_write2_b64 v112, v[52:53], v[58:59] offset0:4 offset1:5
	;; [unrolled: 1-line block ×3, first 2 shown]
	ds_write_b64 v112, v[60:61] offset:64
	s_and_saveexec_b64 s[0:1], vcc
	s_cbranch_execz .LBB0_13
; %bb.12:
	v_sub_f32_e32 v57, v48, v26
	v_sub_f32_e32 v66, v41, v43
	v_add_f32_e32 v48, v26, v48
	v_mov_b32_e32 v26, v44
	v_sub_f32_e32 v58, v40, v42
	v_add_f32_e32 v61, v25, v51
	v_sub_f32_e32 v64, v51, v25
	v_sub_f32_e32 v65, v49, v27
	v_mul_f32_e32 v25, 0x3f7c1c5c, v66
	v_fmac_f32_e32 v26, 0x3f441b7d, v48
	v_add_f32_e32 v67, v42, v40
	v_sub_f32_e32 v56, v50, v24
	v_mul_f32_e32 v52, 0x3f7c1c5c, v58
	v_fma_f32 v25, v65, s2, -v25
	v_fmac_f32_e32 v26, 0x3e31d0d4, v67
	v_add_f32_e32 v50, v24, v50
	v_sub_f32_e32 v55, v46, v89
	v_fma_f32 v53, v57, s2, -v52
	v_add_f32_e32 v59, v27, v49
	v_mov_b32_e32 v52, v45
	v_sub_f32_e32 v63, v47, v90
	v_fmac_f32_e32 v25, 0x3f5db3d7, v64
	v_fmac_f32_e32 v26, -0.5, v50
	v_add_f32_e32 v89, v89, v46
	v_fmac_f32_e32 v52, 0x3f441b7d, v59
	v_add_f32_e32 v60, v43, v41
	v_add_f32_e32 v62, v90, v47
	v_fmac_f32_e32 v25, 0x3eaf1d44, v63
	v_fmac_f32_e32 v26, 0xbf708fb2, v89
	;; [unrolled: 1-line block ×3, first 2 shown]
	v_sub_f32_e32 v51, v26, v25
	v_add_f32_e32 v26, v59, v62
	v_fmac_f32_e32 v53, 0x3f5db3d7, v56
	v_fmac_f32_e32 v52, -0.5, v61
	v_add_f32_e32 v24, v61, v26
	v_fmac_f32_e32 v53, 0x3eaf1d44, v55
	v_fmac_f32_e32 v52, 0xbf708fb2, v62
	v_add_f32_e32 v24, v41, v24
	v_add_f32_e32 v52, v53, v52
	v_add_f32_e32 v24, v43, v24
	v_add_f32_e32 v43, v48, v89
	v_fma_f32 v54, -2.0, v53, v52
	v_fma_f32 v53, 2.0, v25, v51
	v_add_f32_e32 v25, v45, v24
	v_add_f32_e32 v24, v50, v43
	;; [unrolled: 1-line block ×4, first 2 shown]
	v_sub_f32_e32 v40, v27, v57
	v_add_f32_e32 v27, v61, v45
	v_add_f32_e32 v26, v60, v26
	v_fmac_f32_e32 v27, -0.5, v26
	v_add_f32_e32 v26, v66, v63
	v_mul_f32_e32 v41, 0x3f5db3d7, v40
	v_fmac_f32_e32 v27, 0x3f5db3d7, v40
	v_sub_f32_e32 v40, v26, v65
	v_add_f32_e32 v26, v50, v44
	v_add_f32_e32 v43, v67, v43
	v_fmac_f32_e32 v26, -0.5, v43
	v_add_f32_e32 v24, v42, v24
	v_mul_f32_e32 v42, 0x3f5db3d7, v40
	v_fmac_f32_e32 v26, 0xbf5db3d7, v40
	v_mov_b32_e32 v43, v45
	v_fma_f32 v40, 2.0, v42, v26
	v_mul_f32_e32 v42, 0xbf248dbb, v58
	v_fmac_f32_e32 v43, 0x3f441b7d, v60
	v_fmac_f32_e32 v42, 0x3f7c1c5c, v55
	;; [unrolled: 1-line block ×4, first 2 shown]
	v_fmac_f32_e32 v43, -0.5, v61
	v_fmac_f32_e32 v42, 0x3eaf1d44, v57
	v_fmac_f32_e32 v43, 0xbf708fb2, v59
	v_add_f32_e32 v43, v42, v43
	v_add_f32_e32 v24, v44, v24
	v_fma_f32 v47, -2.0, v42, v43
	v_mov_b32_e32 v42, v44
	v_mul_f32_e32 v49, 0x3f248dbb, v55
	v_mul_f32_e32 v55, 0x3f248dbb, v63
	v_fmac_f32_e32 v44, 0x3f441b7d, v89
	v_mul_f32_e32 v46, 0xbf248dbb, v66
	v_fmac_f32_e32 v42, 0x3f441b7d, v67
	v_fmac_f32_e32 v45, 0x3f441b7d, v62
	;; [unrolled: 1-line block ×9, first 2 shown]
	v_fmac_f32_e32 v44, -0.5, v50
	v_fmac_f32_e32 v46, 0xbf5db3d7, v64
	v_fmac_f32_e32 v42, -0.5, v50
	v_fmac_f32_e32 v49, 0x3f5db3d7, v56
	;; [unrolled: 2-line block ×3, first 2 shown]
	v_fmac_f32_e32 v44, 0xbf708fb2, v67
	v_fmac_f32_e32 v46, 0x3eaf1d44, v65
	;; [unrolled: 1-line block ×5, first 2 shown]
	v_sub_f32_e32 v44, v44, v55
	v_sub_f32_e32 v42, v42, v46
	v_add_f32_e32 v45, v49, v45
	v_lshlrev_b32_e32 v50, 3, v109
	v_mov_b32_e32 v48, v44
	v_fma_f32 v41, -2.0, v41, v27
	v_fma_f32 v46, 2.0, v46, v42
	v_fma_f32 v49, -2.0, v49, v45
	v_fmac_f32_e32 v48, 2.0, v55
	ds_write2_b64 v50, v[24:25], v[44:45] offset1:1
	ds_write2_b64 v50, v[42:43], v[26:27] offset0:2 offset1:3
	ds_write2_b64 v50, v[51:52], v[53:54] offset0:4 offset1:5
	;; [unrolled: 1-line block ×3, first 2 shown]
	ds_write_b64 v50, v[48:49] offset:64
.LBB0_13:
	s_or_b64 exec, exec, s[0:1]
	s_waitcnt lgkmcnt(0)
	; wave barrier
	s_waitcnt lgkmcnt(0)
	ds_read2_b64 v[43:46], v107 offset1:63
	ds_read2_b64 v[47:50], v107 offset0:126 offset1:189
	v_add_u32_e32 v41, 0x400, v107
	ds_read2_b64 v[51:54], v41 offset0:124 offset1:187
	v_add_u32_e32 v40, 0x800, v107
	;; [unrolled: 2-line block ×5, first 2 shown]
	ds_read2_b64 v[112:115], v42 offset0:116 offset1:179
	s_waitcnt lgkmcnt(5)
	v_mul_f32_e32 v67, v9, v48
	v_mul_f32_e32 v9, v9, v47
	v_fmac_f32_e32 v67, v8, v47
	v_fma_f32 v8, v8, v48, -v9
	s_waitcnt lgkmcnt(4)
	v_mul_f32_e32 v9, v11, v52
	v_mul_f32_e32 v11, v11, v51
	v_fmac_f32_e32 v9, v10, v51
	v_fma_f32 v10, v10, v52, -v11
	;; [unrolled: 5-line block ×6, first 2 shown]
	v_mul_f32_e32 v23, v17, v50
	v_mul_f32_e32 v17, v17, v49
	v_fmac_f32_e32 v23, v16, v49
	v_fma_f32 v16, v16, v50, -v17
	v_mul_f32_e32 v17, v19, v54
	v_mul_f32_e32 v19, v19, v53
	v_fmac_f32_e32 v17, v18, v53
	v_fma_f32 v18, v18, v54, -v19
	;; [unrolled: 4-line block ×3, first 2 shown]
	v_mul_f32_e32 v48, v15, v62
	v_mul_f32_e32 v12, v15, v61
	;; [unrolled: 1-line block ×4, first 2 shown]
	v_fmac_f32_e32 v15, v4, v65
	v_fma_f32 v49, v4, v66, -v5
	v_mul_f32_e32 v4, v7, v114
	v_mul_f32_e32 v50, v7, v115
	v_fma_f32 v51, v6, v115, -v4
	v_add_f32_e32 v4, v67, v21
	v_add_f32_e32 v5, v8, v22
	v_sub_f32_e32 v7, v8, v22
	v_add_f32_e32 v8, v9, v3
	v_fmac_f32_e32 v48, v14, v61
	v_fma_f32 v14, v14, v62, -v12
	v_add_f32_e32 v12, v10, v20
	v_sub_f32_e32 v3, v9, v3
	v_sub_f32_e32 v9, v10, v20
	v_add_f32_e32 v10, v11, v1
	v_add_f32_e32 v13, v0, v2
	v_sub_f32_e32 v0, v2, v0
	v_add_f32_e32 v2, v8, v4
	v_sub_f32_e32 v1, v1, v11
	v_add_f32_e32 v11, v12, v5
	v_add_f32_e32 v2, v10, v2
	v_fmac_f32_e32 v50, v6, v114
	v_sub_f32_e32 v6, v67, v21
	v_sub_f32_e32 v20, v8, v4
	;; [unrolled: 1-line block ×4, first 2 shown]
	v_add_f32_e32 v22, v1, v3
	v_add_f32_e32 v52, v0, v9
	v_sub_f32_e32 v53, v1, v3
	v_sub_f32_e32 v54, v0, v9
	;; [unrolled: 1-line block ×3, first 2 shown]
	v_add_f32_e32 v10, v13, v11
	v_add_f32_e32 v0, v43, v2
	v_mad_u64_u32 v[24:25], s[0:1], s10, v80, 0
	v_sub_f32_e32 v21, v12, v5
	v_sub_f32_e32 v5, v5, v13
	v_sub_f32_e32 v12, v13, v12
	v_sub_f32_e32 v55, v6, v1
	v_sub_f32_e32 v3, v3, v6
	v_sub_f32_e32 v9, v9, v7
	v_add_f32_e32 v6, v22, v6
	v_add_f32_e32 v1, v44, v10
	v_mul_f32_e32 v22, 0x3f08b237, v53
	v_mov_b32_e32 v53, v0
	v_add_f32_e32 v7, v52, v7
	v_mul_f32_e32 v4, 0x3f4a47b2, v4
	v_mul_f32_e32 v5, 0x3f4a47b2, v5
	;; [unrolled: 1-line block ×5, first 2 shown]
	s_mov_b32 s0, 0xbf5ff5aa
	v_mul_f32_e32 v44, 0xbf5ff5aa, v3
	v_mul_f32_e32 v52, 0xbf5ff5aa, v9
	v_fmac_f32_e32 v53, 0xbf955555, v2
	v_mov_b32_e32 v2, v1
	s_mov_b32 s2, 0x3f3bfb3b
	s_mov_b32 s1, 0xbf3bfb3b
	;; [unrolled: 1-line block ×3, first 2 shown]
	v_fmac_f32_e32 v2, 0xbf955555, v10
	v_fma_f32 v10, v20, s2, -v11
	v_fma_f32 v11, v21, s2, -v13
	;; [unrolled: 1-line block ×3, first 2 shown]
	v_fmac_f32_e32 v4, 0x3d64c772, v8
	v_fma_f32 v8, v21, s1, -v5
	v_fmac_f32_e32 v5, 0x3d64c772, v12
	v_fma_f32 v12, v3, s0, -v22
	;; [unrolled: 2-line block ×3, first 2 shown]
	v_fma_f32 v20, v55, s3, -v44
	v_fma_f32 v21, v56, s3, -v52
	v_fmac_f32_e32 v43, 0xbeae86e6, v56
	v_add_f32_e32 v44, v4, v53
	v_add_f32_e32 v52, v5, v2
	;; [unrolled: 1-line block ×6, first 2 shown]
	v_fmac_f32_e32 v22, 0xbee1c552, v6
	v_fmac_f32_e32 v12, 0xbee1c552, v6
	v_fmac_f32_e32 v9, 0xbee1c552, v7
	v_fmac_f32_e32 v20, 0xbee1c552, v6
	v_fmac_f32_e32 v21, 0xbee1c552, v7
	v_fmac_f32_e32 v43, 0xbee1c552, v7
	v_sub_f32_e32 v3, v52, v22
	v_add_f32_e32 v4, v21, v13
	v_sub_f32_e32 v5, v53, v20
	v_sub_f32_e32 v6, v10, v9
	v_add_f32_e32 v7, v12, v11
	v_add_f32_e32 v8, v9, v10
	v_sub_f32_e32 v9, v11, v12
	v_sub_f32_e32 v10, v13, v21
	v_add_f32_e32 v11, v20, v53
	v_add_f32_e32 v13, v22, v52
	;; [unrolled: 1-line block ×3, first 2 shown]
	v_sub_f32_e32 v22, v23, v50
	v_add_f32_e32 v23, v17, v15
	v_add_f32_e32 v2, v43, v44
	v_sub_f32_e32 v12, v44, v43
	v_add_f32_e32 v21, v16, v51
	v_add_f32_e32 v43, v18, v49
	v_sub_f32_e32 v15, v17, v15
	v_sub_f32_e32 v17, v18, v49
	v_add_f32_e32 v18, v19, v48
	v_add_f32_e32 v44, v47, v14
	v_sub_f32_e32 v14, v14, v47
	v_add_f32_e32 v47, v23, v20
	v_sub_f32_e32 v16, v16, v51
	v_sub_f32_e32 v19, v48, v19
	v_add_f32_e32 v48, v43, v21
	v_sub_f32_e32 v49, v23, v20
	v_sub_f32_e32 v20, v20, v18
	v_sub_f32_e32 v23, v18, v23
	v_add_f32_e32 v18, v18, v47
	v_sub_f32_e32 v50, v43, v21
	;; [unrolled: 4-line block ×3, first 2 shown]
	v_sub_f32_e32 v54, v14, v17
	v_sub_f32_e32 v55, v16, v14
	v_add_f32_e32 v44, v44, v48
	v_add_f32_e32 v14, v45, v18
	;; [unrolled: 1-line block ×3, first 2 shown]
	v_sub_f32_e32 v56, v15, v22
	v_sub_f32_e32 v17, v17, v16
	v_add_f32_e32 v15, v46, v44
	v_mul_f32_e32 v47, 0x3f08b237, v53
	v_mov_b32_e32 v53, v14
	v_sub_f32_e32 v19, v22, v19
	v_add_f32_e32 v22, v51, v22
	v_add_f32_e32 v16, v52, v16
	v_mul_f32_e32 v20, 0x3f4a47b2, v20
	v_mul_f32_e32 v21, 0x3f4a47b2, v21
	;; [unrolled: 1-line block ×7, first 2 shown]
	v_fmac_f32_e32 v53, 0xbf955555, v18
	v_mov_b32_e32 v18, v15
	v_fmac_f32_e32 v18, 0xbf955555, v44
	v_fma_f32 v44, v49, s2, -v45
	v_fma_f32 v45, v50, s2, -v46
	;; [unrolled: 1-line block ×3, first 2 shown]
	v_fmac_f32_e32 v20, 0x3d64c772, v23
	v_fma_f32 v23, v50, s1, -v21
	v_fmac_f32_e32 v21, 0x3d64c772, v43
	v_fma_f32 v43, v56, s0, -v47
	v_fmac_f32_e32 v47, 0xbeae86e6, v19
	v_fma_f32 v49, v17, s0, -v48
	v_fmac_f32_e32 v48, 0xbeae86e6, v55
	v_fma_f32 v50, v19, s3, -v51
	v_fma_f32 v51, v55, s3, -v52
	v_add_f32_e32 v52, v20, v53
	v_add_f32_e32 v54, v21, v18
	;; [unrolled: 1-line block ×6, first 2 shown]
	v_fmac_f32_e32 v47, 0xbee1c552, v22
	v_fmac_f32_e32 v48, 0xbee1c552, v16
	v_fmac_f32_e32 v43, 0xbee1c552, v22
	v_fmac_f32_e32 v49, 0xbee1c552, v16
	v_fmac_f32_e32 v50, 0xbee1c552, v22
	v_fmac_f32_e32 v51, 0xbee1c552, v16
	v_add_f32_e32 v16, v48, v52
	v_sub_f32_e32 v17, v54, v47
	v_add_f32_e32 v18, v51, v46
	v_sub_f32_e32 v19, v53, v50
	v_sub_f32_e32 v20, v44, v49
	v_add_f32_e32 v21, v43, v45
	v_add_f32_e32 v22, v49, v44
	v_sub_f32_e32 v23, v45, v43
	v_sub_f32_e32 v43, v46, v51
	v_add_f32_e32 v44, v50, v53
	v_sub_f32_e32 v45, v52, v48
	v_add_f32_e32 v46, v47, v54
	s_waitcnt lgkmcnt(0)
	; wave barrier
	ds_write2_b64 v110, v[0:1], v[2:3] offset1:9
	ds_write2_b64 v110, v[4:5], v[6:7] offset0:18 offset1:27
	ds_write2_b64 v110, v[8:9], v[10:11] offset0:36 offset1:45
	ds_write_b64 v110, v[12:13] offset:432
	ds_write2_b64 v111, v[14:15], v[16:17] offset1:9
	ds_write2_b64 v111, v[18:19], v[20:21] offset0:18 offset1:27
	ds_write2_b64 v111, v[22:23], v[43:44] offset0:36 offset1:45
	ds_write_b64 v111, v[45:46] offset:432
	s_waitcnt lgkmcnt(0)
	; wave barrier
	s_waitcnt lgkmcnt(0)
	ds_read2_b64 v[0:3], v107 offset1:63
	ds_read2_b64 v[4:7], v107 offset0:126 offset1:189
	ds_read2_b64 v[8:11], v41 offset0:124 offset1:187
	;; [unrolled: 1-line block ×6, first 2 shown]
	s_waitcnt lgkmcnt(5)
	v_mul_f32_e32 v47, v37, v5
	v_fmac_f32_e32 v47, v36, v4
	v_mul_f32_e32 v4, v37, v4
	v_fma_f32 v4, v36, v5, -v4
	s_waitcnt lgkmcnt(4)
	v_mul_f32_e32 v5, v39, v9
	v_fmac_f32_e32 v5, v38, v8
	v_mul_f32_e32 v8, v39, v8
	v_fma_f32 v8, v38, v9, -v8
	;; [unrolled: 5-line block ×6, first 2 shown]
	v_mul_f32_e32 v44, v37, v7
	v_fmac_f32_e32 v44, v36, v6
	v_mul_f32_e32 v6, v37, v6
	v_fma_f32 v36, v36, v7, -v6
	v_mul_f32_e32 v37, v39, v11
	v_mul_f32_e32 v6, v39, v10
	v_fmac_f32_e32 v37, v38, v10
	v_fma_f32 v38, v38, v11, -v6
	v_mul_f32_e32 v39, v33, v15
	v_mul_f32_e32 v6, v33, v14
	v_fmac_f32_e32 v39, v32, v14
	;; [unrolled: 4-line block ×4, first 2 shown]
	v_fma_f32 v22, v28, v23, -v6
	v_mul_f32_e32 v6, v31, v45
	v_fma_f32 v28, v30, v46, -v6
	v_add_f32_e32 v6, v47, v21
	v_add_f32_e32 v11, v5, v17
	;; [unrolled: 1-line block ×5, first 2 shown]
	v_sub_f32_e32 v9, v13, v9
	v_add_f32_e32 v13, v11, v6
	v_sub_f32_e32 v5, v5, v17
	v_add_f32_e32 v17, v12, v16
	;; [unrolled: 2-line block ×3, first 2 shown]
	v_add_f32_e32 v13, v15, v13
	v_mul_f32_e32 v23, v31, v46
	v_sub_f32_e32 v8, v8, v20
	v_sub_f32_e32 v20, v11, v6
	;; [unrolled: 1-line block ×4, first 2 shown]
	v_add_f32_e32 v15, v17, v16
	v_add_f32_e32 v0, v0, v13
	v_fmac_f32_e32 v23, v30, v45
	v_sub_f32_e32 v10, v47, v21
	v_sub_f32_e32 v4, v4, v43
	v_sub_f32_e32 v21, v14, v7
	v_sub_f32_e32 v7, v7, v17
	v_sub_f32_e32 v14, v17, v14
	v_add_f32_e32 v29, v9, v5
	v_add_f32_e32 v30, v12, v8
	v_sub_f32_e32 v31, v9, v5
	v_sub_f32_e32 v34, v12, v8
	v_add_f32_e32 v1, v1, v15
	v_mov_b32_e32 v35, v0
	v_sub_f32_e32 v9, v10, v9
	v_sub_f32_e32 v12, v4, v12
	;; [unrolled: 1-line block ×4, first 2 shown]
	v_add_f32_e32 v10, v29, v10
	v_add_f32_e32 v4, v30, v4
	v_mul_f32_e32 v6, 0x3f4a47b2, v6
	v_mul_f32_e32 v7, 0x3f4a47b2, v7
	;; [unrolled: 1-line block ×6, first 2 shown]
	v_fmac_f32_e32 v35, 0xbf955555, v13
	v_mov_b32_e32 v13, v1
	v_mul_f32_e32 v31, 0xbf5ff5aa, v5
	v_mul_f32_e32 v34, 0xbf5ff5aa, v8
	v_fmac_f32_e32 v13, 0xbf955555, v15
	v_fma_f32 v15, v20, s2, -v16
	v_fma_f32 v16, v21, s2, -v17
	;; [unrolled: 1-line block ×3, first 2 shown]
	v_fmac_f32_e32 v6, 0x3d64c772, v11
	v_fma_f32 v11, v21, s1, -v7
	v_fmac_f32_e32 v7, 0x3d64c772, v14
	v_fma_f32 v14, v5, s0, -v29
	v_fma_f32 v20, v8, s0, -v30
	v_fmac_f32_e32 v29, 0xbeae86e6, v9
	v_fmac_f32_e32 v30, 0xbeae86e6, v12
	v_fma_f32 v21, v9, s3, -v31
	v_fma_f32 v12, v12, s3, -v34
	v_add_f32_e32 v15, v15, v35
	v_add_f32_e32 v16, v16, v13
	v_fmac_f32_e32 v14, 0xbee1c552, v10
	v_fmac_f32_e32 v20, 0xbee1c552, v4
	v_add_f32_e32 v31, v6, v35
	v_add_f32_e32 v34, v7, v13
	v_add_f32_e32 v17, v17, v35
	v_add_f32_e32 v13, v11, v13
	v_fmac_f32_e32 v29, 0xbee1c552, v10
	v_fmac_f32_e32 v30, 0xbee1c552, v4
	v_fmac_f32_e32 v21, 0xbee1c552, v10
	v_fmac_f32_e32 v12, 0xbee1c552, v4
	v_sub_f32_e32 v8, v15, v20
	v_add_f32_e32 v9, v14, v16
	v_add_f32_e32 v10, v20, v15
	v_sub_f32_e32 v11, v16, v14
	v_add_f32_e32 v16, v44, v23
	v_sub_f32_e32 v20, v44, v23
	v_add_f32_e32 v23, v37, v19
	v_add_f32_e32 v4, v30, v31
	v_sub_f32_e32 v5, v34, v29
	v_add_f32_e32 v6, v12, v17
	v_sub_f32_e32 v7, v13, v21
	v_sub_f32_e32 v12, v17, v12
	v_add_f32_e32 v13, v21, v13
	v_sub_f32_e32 v14, v31, v30
	v_add_f32_e32 v15, v29, v34
	v_add_f32_e32 v17, v36, v28
	v_sub_f32_e32 v21, v36, v28
	v_add_f32_e32 v28, v38, v22
	v_add_f32_e32 v29, v39, v33
	;; [unrolled: 1-line block ×3, first 2 shown]
	v_sub_f32_e32 v18, v18, v32
	v_add_f32_e32 v32, v23, v16
	v_sub_f32_e32 v31, v33, v39
	v_add_f32_e32 v33, v28, v17
	v_sub_f32_e32 v34, v23, v16
	v_sub_f32_e32 v16, v16, v29
	;; [unrolled: 1-line block ×3, first 2 shown]
	v_add_f32_e32 v29, v29, v32
	v_sub_f32_e32 v19, v37, v19
	v_sub_f32_e32 v22, v38, v22
	;; [unrolled: 1-line block ×5, first 2 shown]
	v_add_f32_e32 v30, v30, v33
	v_add_f32_e32 v2, v2, v29
	;; [unrolled: 1-line block ×4, first 2 shown]
	v_sub_f32_e32 v38, v31, v19
	v_sub_f32_e32 v39, v18, v22
	;; [unrolled: 1-line block ×4, first 2 shown]
	v_add_f32_e32 v3, v3, v30
	v_mov_b32_e32 v43, v2
	v_sub_f32_e32 v31, v20, v31
	v_sub_f32_e32 v18, v21, v18
	v_add_f32_e32 v20, v36, v20
	v_add_f32_e32 v21, v37, v21
	v_mul_f32_e32 v16, 0x3f4a47b2, v16
	v_mul_f32_e32 v17, 0x3f4a47b2, v17
	;; [unrolled: 1-line block ×8, first 2 shown]
	v_fmac_f32_e32 v43, 0xbf955555, v29
	v_mov_b32_e32 v29, v3
	v_fmac_f32_e32 v29, 0xbf955555, v30
	v_fma_f32 v30, v34, s2, -v32
	v_fma_f32 v32, v35, s2, -v33
	;; [unrolled: 1-line block ×3, first 2 shown]
	v_fmac_f32_e32 v16, 0x3d64c772, v23
	v_fma_f32 v23, v35, s1, -v17
	v_fmac_f32_e32 v17, 0x3d64c772, v28
	v_fma_f32 v28, v19, s0, -v36
	;; [unrolled: 2-line block ×4, first 2 shown]
	v_fma_f32 v34, v18, s3, -v39
	v_add_f32_e32 v35, v16, v43
	v_add_f32_e32 v38, v17, v29
	;; [unrolled: 1-line block ×6, first 2 shown]
	v_fmac_f32_e32 v36, 0xbee1c552, v20
	v_fmac_f32_e32 v37, 0xbee1c552, v21
	;; [unrolled: 1-line block ×6, first 2 shown]
	v_add_f32_e32 v16, v37, v35
	v_sub_f32_e32 v17, v38, v36
	v_add_f32_e32 v18, v34, v33
	v_sub_f32_e32 v19, v29, v31
	v_sub_f32_e32 v20, v30, v22
	v_add_f32_e32 v21, v28, v32
	v_add_f32_e32 v22, v22, v30
	v_sub_f32_e32 v23, v32, v28
	v_sub_f32_e32 v28, v33, v34
	v_add_f32_e32 v29, v31, v29
	v_sub_f32_e32 v30, v35, v37
	v_add_f32_e32 v31, v36, v38
	s_waitcnt lgkmcnt(0)
	; wave barrier
	ds_write2_b64 v107, v[0:1], v[4:5] offset1:63
	ds_write2_b64 v107, v[6:7], v[8:9] offset0:126 offset1:189
	ds_write2_b64 v41, v[10:11], v[12:13] offset0:124 offset1:187
	;; [unrolled: 1-line block ×6, first 2 shown]
	s_waitcnt lgkmcnt(0)
	; wave barrier
	s_waitcnt lgkmcnt(0)
	ds_read2_b64 v[0:3], v107 offset1:63
	ds_read2_b64 v[4:7], v40 offset0:122 offset1:185
	ds_read2_b64 v[8:11], v27 offset0:120 offset1:183
	;; [unrolled: 1-line block ×6, first 2 shown]
	s_waitcnt lgkmcnt(5)
	v_mul_f32_e32 v32, v104, v7
	v_fmac_f32_e32 v32, v103, v6
	v_mul_f32_e32 v6, v104, v6
	v_fma_f32 v7, v103, v7, -v6
	s_waitcnt lgkmcnt(4)
	v_mul_f32_e32 v6, v92, v8
	v_mul_f32_e32 v33, v92, v9
	v_fma_f32 v9, v91, v9, -v6
	v_mul_f32_e32 v6, v94, v10
	v_mul_f32_e32 v34, v94, v11
	v_fma_f32 v11, v93, v11, -v6
	s_waitcnt lgkmcnt(2)
	v_mul_f32_e32 v6, v96, v16
	v_mul_f32_e32 v35, v96, v17
	v_fma_f32 v17, v95, v17, -v6
	v_mul_f32_e32 v6, v98, v18
	v_mul_f32_e32 v36, v98, v19
	v_fma_f32 v19, v97, v19, -v6
	s_waitcnt lgkmcnt(0)
	v_mul_f32_e32 v6, v100, v28
	v_fmac_f32_e32 v33, v91, v8
	v_mul_f32_e32 v37, v100, v29
	v_fma_f32 v29, v99, v29, -v6
	v_mul_f32_e32 v38, v102, v31
	v_mul_f32_e32 v6, v102, v30
	v_fmac_f32_e32 v34, v93, v10
	v_fmac_f32_e32 v35, v95, v16
	;; [unrolled: 1-line block ×5, first 2 shown]
	v_fma_f32 v31, v101, v31, -v6
	v_sub_f32_e32 v6, v0, v32
	v_sub_f32_e32 v7, v1, v7
	;; [unrolled: 1-line block ×4, first 2 shown]
	v_fma_f32 v0, v0, 2.0, -v6
	v_fma_f32 v1, v1, 2.0, -v7
	;; [unrolled: 1-line block ×4, first 2 shown]
	v_sub_f32_e32 v10, v12, v34
	v_sub_f32_e32 v11, v13, v11
	;; [unrolled: 1-line block ×10, first 2 shown]
	v_fma_f32 v12, v12, 2.0, -v10
	v_fma_f32 v13, v13, 2.0, -v11
	;; [unrolled: 1-line block ×10, first 2 shown]
	ds_write2_b64 v107, v[0:1], v[2:3] offset1:63
	ds_write2_b64 v27, v[8:9], v[10:11] offset0:120 offset1:183
	ds_write2_b64 v107, v[12:13], v[14:15] offset0:126 offset1:189
	;; [unrolled: 1-line block ×6, first 2 shown]
	s_waitcnt lgkmcnt(0)
	; wave barrier
	s_waitcnt lgkmcnt(0)
	ds_read2_b64 v[0:3], v107 offset1:98
	v_mov_b32_e32 v4, v25
	v_mad_u64_u32 v[4:5], s[0:1], s11, v80, v[4:5]
	s_mov_b32 s2, 0x5bb804a5
	s_waitcnt lgkmcnt(0)
	v_mul_f32_e32 v5, v86, v1
	v_fmac_f32_e32 v5, v85, v0
	v_cvt_f64_f32_e32 v[5:6], v5
	v_mul_f32_e32 v0, v86, v0
	s_mov_b32 s3, 0x3f529372
	v_fma_f32 v0, v85, v1, -v0
	v_cvt_f64_f32_e32 v[0:1], v0
	v_mul_f64 v[5:6], v[5:6], s[2:3]
	v_mad_u64_u32 v[7:8], s[0:1], s8, v108, 0
	v_mul_f64 v[0:1], v[0:1], s[2:3]
	v_mov_b32_e32 v25, v4
	v_mov_b32_e32 v4, v8
	s_movk_i32 s10, 0x1000
	v_mad_u64_u32 v[8:9], s[0:1], s9, v108, v[4:5]
	v_mul_f32_e32 v9, v88, v3
	v_fmac_f32_e32 v9, v87, v2
	v_cvt_f64_f32_e32 v[9:10], v9
	v_cvt_f32_f64_e32 v4, v[5:6]
	v_cvt_f32_f64_e32 v5, v[0:1]
	v_lshlrev_b64 v[0:1], 3, v[24:25]
	v_mov_b32_e32 v6, s7
	v_mul_f32_e32 v2, v88, v2
	v_add_co_u32_e64 v11, s[0:1], s6, v0
	v_fma_f32 v2, v87, v3, -v2
	v_addc_co_u32_e64 v12, s[0:1], v6, v1, s[0:1]
	v_mul_f64 v[0:1], v[9:10], s[2:3]
	v_cvt_f64_f32_e32 v[2:3], v2
	v_lshlrev_b64 v[6:7], 3, v[7:8]
	v_add_co_u32_e64 v6, s[0:1], v11, v6
	v_mul_f64 v[8:9], v[2:3], s[2:3]
	v_addc_co_u32_e64 v7, s[0:1], v12, v7, s[0:1]
	global_store_dwordx2 v[6:7], v[4:5], off
	v_cvt_f32_f64_e32 v4, v[0:1]
	ds_read2_b64 v[0:3], v41 offset0:68 offset1:166
	s_mul_i32 s0, s9, 0x62
	s_mul_hi_u32 s1, s8, 0x62
	v_cvt_f32_f64_e32 v5, v[8:9]
	s_add_i32 s1, s1, s0
	s_waitcnt lgkmcnt(0)
	v_mul_f32_e32 v8, v84, v1
	v_fmac_f32_e32 v8, v83, v0
	v_mul_f32_e32 v0, v84, v0
	v_fma_f32 v0, v83, v1, -v0
	v_cvt_f64_f32_e32 v[0:1], v0
	v_cvt_f64_f32_e32 v[8:9], v8
	s_mul_i32 s0, s8, 0x62
	s_lshl_b64 s[4:5], s[0:1], 3
	v_mul_f64 v[0:1], v[0:1], s[2:3]
	v_mul_f64 v[8:9], v[8:9], s[2:3]
	v_mov_b32_e32 v14, s5
	v_add_co_u32_e64 v6, s[0:1], s4, v6
	v_addc_co_u32_e64 v7, s[0:1], v7, v14, s[0:1]
	global_store_dwordx2 v[6:7], v[4:5], off
	v_cvt_f32_f64_e32 v5, v[0:1]
	v_mul_f32_e32 v0, v79, v3
	v_fmac_f32_e32 v0, v78, v2
	v_cvt_f32_f64_e32 v4, v[8:9]
	v_cvt_f64_f32_e32 v[8:9], v0
	v_mul_f32_e32 v0, v79, v2
	v_fma_f32 v0, v78, v3, -v0
	v_cvt_f64_f32_e32 v[10:11], v0
	ds_read2_b64 v[0:3], v40 offset0:136 offset1:234
	v_mul_f64 v[8:9], v[8:9], s[2:3]
	v_add_co_u32_e64 v6, s[0:1], s4, v6
	v_mul_f64 v[10:11], v[10:11], s[2:3]
	s_waitcnt lgkmcnt(0)
	v_mul_f32_e32 v12, v82, v1
	v_fmac_f32_e32 v12, v81, v0
	v_mul_f32_e32 v0, v82, v0
	v_fma_f32 v0, v81, v1, -v0
	v_cvt_f64_f32_e32 v[0:1], v0
	v_cvt_f64_f32_e32 v[12:13], v12
	v_addc_co_u32_e64 v7, s[0:1], v7, v14, s[0:1]
	v_mul_f64 v[0:1], v[0:1], s[2:3]
	global_store_dwordx2 v[6:7], v[4:5], off
	v_cvt_f32_f64_e32 v4, v[8:9]
	v_mul_f64 v[8:9], v[12:13], s[2:3]
	v_cvt_f32_f64_e32 v5, v[10:11]
	v_add_co_u32_e64 v6, s[0:1], s4, v6
	v_addc_co_u32_e64 v7, s[0:1], v7, v14, s[0:1]
	global_store_dwordx2 v[6:7], v[4:5], off
	v_cvt_f32_f64_e32 v5, v[0:1]
	v_mul_f32_e32 v0, v77, v3
	v_fmac_f32_e32 v0, v76, v2
	v_cvt_f32_f64_e32 v4, v[8:9]
	v_cvt_f64_f32_e32 v[8:9], v0
	v_mul_f32_e32 v0, v77, v2
	v_fma_f32 v0, v76, v3, -v0
	v_cvt_f64_f32_e32 v[10:11], v0
	ds_read2_b64 v[0:3], v26 offset0:76 offset1:174
	v_mul_f64 v[8:9], v[8:9], s[2:3]
	v_add_co_u32_e64 v6, s[0:1], s4, v6
	v_mul_f64 v[10:11], v[10:11], s[2:3]
	s_waitcnt lgkmcnt(0)
	v_mul_f32_e32 v12, v75, v1
	v_fmac_f32_e32 v12, v74, v0
	v_cvt_f64_f32_e32 v[12:13], v12
	v_mul_f32_e32 v0, v75, v0
	v_fma_f32 v0, v74, v1, -v0
	v_addc_co_u32_e64 v7, s[0:1], v7, v14, s[0:1]
	v_cvt_f64_f32_e32 v[0:1], v0
	global_store_dwordx2 v[6:7], v[4:5], off
	v_cvt_f32_f64_e32 v4, v[8:9]
	v_mul_f64 v[8:9], v[12:13], s[2:3]
	v_mul_f64 v[0:1], v[0:1], s[2:3]
	v_cvt_f32_f64_e32 v5, v[10:11]
	v_add_co_u32_e64 v6, s[0:1], s4, v6
	v_addc_co_u32_e64 v7, s[0:1], v7, v14, s[0:1]
	global_store_dwordx2 v[6:7], v[4:5], off
	v_cvt_f32_f64_e32 v4, v[8:9]
	ds_read_b64 v[8:9], v107 offset:6272
	v_cvt_f32_f64_e32 v5, v[0:1]
	v_mul_f32_e32 v0, v73, v3
	v_fmac_f32_e32 v0, v72, v2
	v_mul_f32_e32 v2, v73, v2
	v_fma_f32 v2, v72, v3, -v2
	s_waitcnt lgkmcnt(0)
	v_mul_f32_e32 v10, v71, v9
	v_cvt_f64_f32_e32 v[0:1], v0
	v_cvt_f64_f32_e32 v[2:3], v2
	v_fmac_f32_e32 v10, v70, v8
	v_mul_f32_e32 v8, v71, v8
	v_fma_f32 v8, v70, v9, -v8
	v_cvt_f64_f32_e32 v[10:11], v10
	v_cvt_f64_f32_e32 v[8:9], v8
	v_add_co_u32_e64 v6, s[0:1], s4, v6
	v_mul_f64 v[0:1], v[0:1], s[2:3]
	v_mul_f64 v[2:3], v[2:3], s[2:3]
	v_addc_co_u32_e64 v7, s[0:1], v7, v14, s[0:1]
	global_store_dwordx2 v[6:7], v[4:5], off
	v_mul_f64 v[4:5], v[10:11], s[2:3]
	v_mul_f64 v[8:9], v[8:9], s[2:3]
	v_cvt_f32_f64_e32 v0, v[0:1]
	v_cvt_f32_f64_e32 v1, v[2:3]
	v_add_co_u32_e64 v2, s[0:1], s4, v6
	v_addc_co_u32_e64 v3, s[0:1], v7, v14, s[0:1]
	v_cvt_f32_f64_e32 v4, v[4:5]
	v_cvt_f32_f64_e32 v5, v[8:9]
	global_store_dwordx2 v[2:3], v[0:1], off
	v_add_co_u32_e64 v0, s[0:1], s4, v2
	v_addc_co_u32_e64 v1, s[0:1], v3, v14, s[0:1]
	global_store_dwordx2 v[0:1], v[4:5], off
	s_and_b64 exec, exec, vcc
	s_cbranch_execz .LBB0_15
; %bb.14:
	global_load_dwordx2 v[10:11], v[68:69], off offset:504
	global_load_dwordx2 v[12:13], v[68:69], off offset:1288
	;; [unrolled: 1-line block ×3, first 2 shown]
	ds_read2_b64 v[2:5], v107 offset0:63 offset1:161
	v_mov_b32_e32 v6, 0xffffe978
	v_mad_u64_u32 v[0:1], s[0:1], s8, v6, v[0:1]
	ds_read2_b64 v[6:9], v40 offset0:3 offset1:101
	s_mul_i32 s6, s9, 0xffffe978
	s_sub_i32 s0, s6, s8
	v_mov_b32_e32 v18, s5
	v_add_u32_e32 v1, s0, v1
	s_waitcnt vmcnt(2) lgkmcnt(1)
	v_mul_f32_e32 v16, v3, v11
	v_mul_f32_e32 v11, v2, v11
	s_waitcnt vmcnt(1)
	v_mul_f32_e32 v17, v5, v13
	v_mul_f32_e32 v13, v4, v13
	v_fmac_f32_e32 v16, v2, v10
	v_fma_f32 v10, v10, v3, -v11
	s_waitcnt vmcnt(0) lgkmcnt(0)
	v_mul_f32_e32 v19, v7, v15
	v_mul_f32_e32 v15, v6, v15
	v_fmac_f32_e32 v17, v4, v12
	v_fma_f32 v11, v12, v5, -v13
	v_cvt_f64_f32_e32 v[2:3], v16
	v_cvt_f64_f32_e32 v[4:5], v10
	v_fmac_f32_e32 v19, v6, v14
	v_fma_f32 v14, v14, v7, -v15
	v_cvt_f64_f32_e32 v[6:7], v17
	v_cvt_f64_f32_e32 v[10:11], v11
	;; [unrolled: 1-line block ×4, first 2 shown]
	v_mul_f64 v[2:3], v[2:3], s[2:3]
	v_mul_f64 v[4:5], v[4:5], s[2:3]
	;; [unrolled: 1-line block ×6, first 2 shown]
	v_add_co_u32_e32 v16, vcc, s4, v0
	v_cvt_f32_f64_e32 v2, v[2:3]
	v_cvt_f32_f64_e32 v3, v[4:5]
	;; [unrolled: 1-line block ×4, first 2 shown]
	v_addc_co_u32_e32 v17, vcc, v1, v18, vcc
	v_cvt_f32_f64_e32 v6, v[12:13]
	v_cvt_f32_f64_e32 v7, v[14:15]
	v_add_co_u32_e32 v10, vcc, s4, v16
	v_addc_co_u32_e32 v11, vcc, v17, v18, vcc
	global_store_dwordx2 v[0:1], v[2:3], off
	global_store_dwordx2 v[16:17], v[4:5], off
	global_store_dwordx2 v[10:11], v[6:7], off
	global_load_dwordx2 v[0:1], v[68:69], off offset:2856
	v_add_co_u32_e32 v4, vcc, s4, v10
	v_addc_co_u32_e32 v5, vcc, v11, v18, vcc
	s_waitcnt vmcnt(0)
	v_mul_f32_e32 v2, v9, v1
	v_mul_f32_e32 v1, v8, v1
	v_fmac_f32_e32 v2, v8, v0
	v_fma_f32 v3, v0, v9, -v1
	v_cvt_f64_f32_e32 v[0:1], v2
	v_cvt_f64_f32_e32 v[2:3], v3
	v_mul_f64 v[0:1], v[0:1], s[2:3]
	v_mul_f64 v[2:3], v[2:3], s[2:3]
	v_cvt_f32_f64_e32 v0, v[0:1]
	v_cvt_f32_f64_e32 v1, v[2:3]
	global_store_dwordx2 v[4:5], v[0:1], off
	global_load_dwordx2 v[6:7], v[68:69], off offset:3640
	ds_read2_b64 v[0:3], v27 offset0:71 offset1:169
	s_waitcnt vmcnt(0) lgkmcnt(0)
	v_mul_f32_e32 v8, v1, v7
	v_mul_f32_e32 v7, v0, v7
	v_fmac_f32_e32 v8, v0, v6
	v_fma_f32 v6, v6, v1, -v7
	v_cvt_f64_f32_e32 v[0:1], v8
	v_cvt_f64_f32_e32 v[6:7], v6
	v_add_co_u32_e32 v8, vcc, s10, v68
	v_mul_f64 v[0:1], v[0:1], s[2:3]
	v_mul_f64 v[6:7], v[6:7], s[2:3]
	v_addc_co_u32_e32 v9, vcc, 0, v69, vcc
	v_add_co_u32_e32 v4, vcc, s4, v4
	v_addc_co_u32_e32 v5, vcc, v5, v18, vcc
	v_cvt_f32_f64_e32 v0, v[0:1]
	v_cvt_f32_f64_e32 v1, v[6:7]
	global_store_dwordx2 v[4:5], v[0:1], off
	global_load_dwordx2 v[0:1], v[8:9], off offset:328
	v_add_co_u32_e32 v4, vcc, s4, v4
	v_addc_co_u32_e32 v5, vcc, v5, v18, vcc
	s_waitcnt vmcnt(0)
	v_mul_f32_e32 v6, v3, v1
	v_mul_f32_e32 v1, v2, v1
	v_fmac_f32_e32 v6, v2, v0
	v_fma_f32 v2, v0, v3, -v1
	v_cvt_f64_f32_e32 v[0:1], v6
	v_cvt_f64_f32_e32 v[2:3], v2
	v_mul_f64 v[0:1], v[0:1], s[2:3]
	v_mul_f64 v[2:3], v[2:3], s[2:3]
	v_cvt_f32_f64_e32 v0, v[0:1]
	v_cvt_f32_f64_e32 v1, v[2:3]
	global_store_dwordx2 v[4:5], v[0:1], off
	global_load_dwordx2 v[6:7], v[8:9], off offset:1112
	ds_read2_b64 v[0:3], v26 offset0:139 offset1:237
	v_add_co_u32_e32 v4, vcc, s4, v4
	v_addc_co_u32_e32 v5, vcc, v5, v18, vcc
	s_waitcnt vmcnt(0) lgkmcnt(0)
	v_mul_f32_e32 v10, v1, v7
	v_mul_f32_e32 v7, v0, v7
	v_fmac_f32_e32 v10, v0, v6
	v_fma_f32 v6, v6, v1, -v7
	v_cvt_f64_f32_e32 v[0:1], v10
	v_cvt_f64_f32_e32 v[6:7], v6
	v_mul_f64 v[0:1], v[0:1], s[2:3]
	v_mul_f64 v[6:7], v[6:7], s[2:3]
	v_cvt_f32_f64_e32 v0, v[0:1]
	v_cvt_f32_f64_e32 v1, v[6:7]
	global_store_dwordx2 v[4:5], v[0:1], off
	global_load_dwordx2 v[0:1], v[8:9], off offset:1896
	s_waitcnt vmcnt(0)
	v_mul_f32_e32 v6, v3, v1
	v_mul_f32_e32 v1, v2, v1
	v_fmac_f32_e32 v6, v2, v0
	v_fma_f32 v2, v0, v3, -v1
	v_cvt_f64_f32_e32 v[0:1], v6
	v_cvt_f64_f32_e32 v[2:3], v2
	v_mul_f64 v[0:1], v[0:1], s[2:3]
	v_mul_f64 v[2:3], v[2:3], s[2:3]
	v_cvt_f32_f64_e32 v0, v[0:1]
	v_cvt_f32_f64_e32 v1, v[2:3]
	v_add_co_u32_e32 v2, vcc, s4, v4
	v_addc_co_u32_e32 v3, vcc, v5, v18, vcc
	global_store_dwordx2 v[2:3], v[0:1], off
	global_load_dwordx2 v[0:1], v[8:9], off offset:2680
	ds_read_b64 v[4:5], v107 offset:6776
	v_add_co_u32_e32 v2, vcc, s4, v2
	v_addc_co_u32_e32 v3, vcc, v3, v18, vcc
	s_waitcnt vmcnt(0) lgkmcnt(0)
	v_mul_f32_e32 v6, v5, v1
	v_mul_f32_e32 v1, v4, v1
	v_fmac_f32_e32 v6, v4, v0
	v_fma_f32 v4, v0, v5, -v1
	v_cvt_f64_f32_e32 v[0:1], v6
	v_cvt_f64_f32_e32 v[4:5], v4
	v_mul_f64 v[0:1], v[0:1], s[2:3]
	v_mul_f64 v[4:5], v[4:5], s[2:3]
	v_cvt_f32_f64_e32 v0, v[0:1]
	v_cvt_f32_f64_e32 v1, v[4:5]
	global_store_dwordx2 v[2:3], v[0:1], off
.LBB0_15:
	s_endpgm
	.section	.rodata,"a",@progbits
	.p2align	6, 0x0
	.amdhsa_kernel bluestein_single_back_len882_dim1_sp_op_CI_CI
		.amdhsa_group_segment_fixed_size 7056
		.amdhsa_private_segment_fixed_size 0
		.amdhsa_kernarg_size 104
		.amdhsa_user_sgpr_count 6
		.amdhsa_user_sgpr_private_segment_buffer 1
		.amdhsa_user_sgpr_dispatch_ptr 0
		.amdhsa_user_sgpr_queue_ptr 0
		.amdhsa_user_sgpr_kernarg_segment_ptr 1
		.amdhsa_user_sgpr_dispatch_id 0
		.amdhsa_user_sgpr_flat_scratch_init 0
		.amdhsa_user_sgpr_private_segment_size 0
		.amdhsa_uses_dynamic_stack 0
		.amdhsa_system_sgpr_private_segment_wavefront_offset 0
		.amdhsa_system_sgpr_workgroup_id_x 1
		.amdhsa_system_sgpr_workgroup_id_y 0
		.amdhsa_system_sgpr_workgroup_id_z 0
		.amdhsa_system_sgpr_workgroup_info 0
		.amdhsa_system_vgpr_workitem_id 0
		.amdhsa_next_free_vgpr 135
		.amdhsa_next_free_sgpr 20
		.amdhsa_reserve_vcc 1
		.amdhsa_reserve_flat_scratch 0
		.amdhsa_float_round_mode_32 0
		.amdhsa_float_round_mode_16_64 0
		.amdhsa_float_denorm_mode_32 3
		.amdhsa_float_denorm_mode_16_64 3
		.amdhsa_dx10_clamp 1
		.amdhsa_ieee_mode 1
		.amdhsa_fp16_overflow 0
		.amdhsa_exception_fp_ieee_invalid_op 0
		.amdhsa_exception_fp_denorm_src 0
		.amdhsa_exception_fp_ieee_div_zero 0
		.amdhsa_exception_fp_ieee_overflow 0
		.amdhsa_exception_fp_ieee_underflow 0
		.amdhsa_exception_fp_ieee_inexact 0
		.amdhsa_exception_int_div_zero 0
	.end_amdhsa_kernel
	.text
.Lfunc_end0:
	.size	bluestein_single_back_len882_dim1_sp_op_CI_CI, .Lfunc_end0-bluestein_single_back_len882_dim1_sp_op_CI_CI
                                        ; -- End function
	.section	.AMDGPU.csdata,"",@progbits
; Kernel info:
; codeLenInByte = 13424
; NumSgprs: 24
; NumVgprs: 135
; ScratchSize: 0
; MemoryBound: 0
; FloatMode: 240
; IeeeMode: 1
; LDSByteSize: 7056 bytes/workgroup (compile time only)
; SGPRBlocks: 2
; VGPRBlocks: 33
; NumSGPRsForWavesPerEU: 24
; NumVGPRsForWavesPerEU: 135
; Occupancy: 1
; WaveLimiterHint : 1
; COMPUTE_PGM_RSRC2:SCRATCH_EN: 0
; COMPUTE_PGM_RSRC2:USER_SGPR: 6
; COMPUTE_PGM_RSRC2:TRAP_HANDLER: 0
; COMPUTE_PGM_RSRC2:TGID_X_EN: 1
; COMPUTE_PGM_RSRC2:TGID_Y_EN: 0
; COMPUTE_PGM_RSRC2:TGID_Z_EN: 0
; COMPUTE_PGM_RSRC2:TIDIG_COMP_CNT: 0
	.type	__hip_cuid_b55b0bc1bbfb12f6,@object ; @__hip_cuid_b55b0bc1bbfb12f6
	.section	.bss,"aw",@nobits
	.globl	__hip_cuid_b55b0bc1bbfb12f6
__hip_cuid_b55b0bc1bbfb12f6:
	.byte	0                               ; 0x0
	.size	__hip_cuid_b55b0bc1bbfb12f6, 1

	.ident	"AMD clang version 19.0.0git (https://github.com/RadeonOpenCompute/llvm-project roc-6.4.0 25133 c7fe45cf4b819c5991fe208aaa96edf142730f1d)"
	.section	".note.GNU-stack","",@progbits
	.addrsig
	.addrsig_sym __hip_cuid_b55b0bc1bbfb12f6
	.amdgpu_metadata
---
amdhsa.kernels:
  - .args:
      - .actual_access:  read_only
        .address_space:  global
        .offset:         0
        .size:           8
        .value_kind:     global_buffer
      - .actual_access:  read_only
        .address_space:  global
        .offset:         8
        .size:           8
        .value_kind:     global_buffer
      - .actual_access:  read_only
        .address_space:  global
        .offset:         16
        .size:           8
        .value_kind:     global_buffer
      - .actual_access:  read_only
        .address_space:  global
        .offset:         24
        .size:           8
        .value_kind:     global_buffer
      - .actual_access:  read_only
        .address_space:  global
        .offset:         32
        .size:           8
        .value_kind:     global_buffer
      - .offset:         40
        .size:           8
        .value_kind:     by_value
      - .address_space:  global
        .offset:         48
        .size:           8
        .value_kind:     global_buffer
      - .address_space:  global
        .offset:         56
        .size:           8
        .value_kind:     global_buffer
      - .address_space:  global
        .offset:         64
        .size:           8
        .value_kind:     global_buffer
      - .address_space:  global
        .offset:         72
        .size:           8
        .value_kind:     global_buffer
      - .offset:         80
        .size:           4
        .value_kind:     by_value
      - .address_space:  global
        .offset:         88
        .size:           8
        .value_kind:     global_buffer
      - .address_space:  global
        .offset:         96
        .size:           8
        .value_kind:     global_buffer
    .group_segment_fixed_size: 7056
    .kernarg_segment_align: 8
    .kernarg_segment_size: 104
    .language:       OpenCL C
    .language_version:
      - 2
      - 0
    .max_flat_workgroup_size: 63
    .name:           bluestein_single_back_len882_dim1_sp_op_CI_CI
    .private_segment_fixed_size: 0
    .sgpr_count:     24
    .sgpr_spill_count: 0
    .symbol:         bluestein_single_back_len882_dim1_sp_op_CI_CI.kd
    .uniform_work_group_size: 1
    .uses_dynamic_stack: false
    .vgpr_count:     135
    .vgpr_spill_count: 0
    .wavefront_size: 64
amdhsa.target:   amdgcn-amd-amdhsa--gfx906
amdhsa.version:
  - 1
  - 2
...

	.end_amdgpu_metadata
